;; amdgpu-corpus repo=ROCm/rocFFT kind=compiled arch=gfx1100 opt=O3
	.text
	.amdgcn_target "amdgcn-amd-amdhsa--gfx1100"
	.amdhsa_code_object_version 6
	.protected	fft_rtc_fwd_len289_factors_17_17_wgs_119_tpt_17_dp_op_CI_CI_sbcc_twdbase8_2step_dirReg_intrinsicRead ; -- Begin function fft_rtc_fwd_len289_factors_17_17_wgs_119_tpt_17_dp_op_CI_CI_sbcc_twdbase8_2step_dirReg_intrinsicRead
	.globl	fft_rtc_fwd_len289_factors_17_17_wgs_119_tpt_17_dp_op_CI_CI_sbcc_twdbase8_2step_dirReg_intrinsicRead
	.p2align	8
	.type	fft_rtc_fwd_len289_factors_17_17_wgs_119_tpt_17_dp_op_CI_CI_sbcc_twdbase8_2step_dirReg_intrinsicRead,@function
fft_rtc_fwd_len289_factors_17_17_wgs_119_tpt_17_dp_op_CI_CI_sbcc_twdbase8_2step_dirReg_intrinsicRead: ; @fft_rtc_fwd_len289_factors_17_17_wgs_119_tpt_17_dp_op_CI_CI_sbcc_twdbase8_2step_dirReg_intrinsicRead
; %bb.0:
	s_clause 0x1
	s_load_b128 s[16:19], s[0:1], 0x18
	s_load_b64 s[26:27], s[0:1], 0x28
	v_mov_b32_e32 v2, v0
	s_mov_b32 s28, s15
	s_mov_b32 s29, 0
	s_mov_b64 s[22:23], 0
	s_waitcnt lgkmcnt(0)
	s_load_b64 s[24:25], s[16:17], 0x8
	s_waitcnt lgkmcnt(0)
	s_add_u32 s2, s24, -1
	s_addc_u32 s3, s25, -1
	s_add_u32 s4, 0, 0x92481000
	s_addc_u32 s5, 0, 0x64
	s_mul_hi_u32 s7, s4, -7
	s_add_i32 s5, s5, 0x249248c0
	s_sub_i32 s7, s7, s4
	s_mul_i32 s9, s5, -7
	s_mul_i32 s6, s4, -7
	s_add_i32 s7, s7, s9
	s_mul_hi_u32 s8, s4, s6
	s_mul_i32 s11, s4, s7
	s_mul_hi_u32 s9, s4, s7
	s_mul_hi_u32 s10, s5, s6
	s_mul_i32 s6, s5, s6
	s_add_u32 s8, s8, s11
	s_addc_u32 s9, 0, s9
	s_mul_hi_u32 s12, s5, s7
	s_add_u32 s6, s8, s6
	s_mul_i32 s7, s5, s7
	s_addc_u32 s6, s9, s10
	s_addc_u32 s8, s12, 0
	s_add_u32 s6, s6, s7
	s_delay_alu instid0(SALU_CYCLE_1) | instskip(SKIP_3) | instid1(VALU_DEP_1)
	v_add_co_u32 v0, s4, s4, s6
	s_addc_u32 s6, 0, s8
	s_cmp_lg_u32 s4, 0
	s_addc_u32 s4, s5, s6
	v_readfirstlane_b32 s5, v0
	s_mul_i32 s7, s2, s4
	s_mul_hi_u32 s6, s2, s4
	s_mul_hi_u32 s8, s3, s4
	s_mul_i32 s4, s3, s4
	s_mul_hi_u32 s9, s2, s5
	s_mul_hi_u32 s10, s3, s5
	s_mul_i32 s5, s3, s5
	s_add_u32 s7, s9, s7
	s_addc_u32 s6, 0, s6
	s_add_u32 s5, s7, s5
	s_addc_u32 s5, s6, s10
	s_addc_u32 s6, s8, 0
	s_add_u32 s4, s5, s4
	s_addc_u32 s5, 0, s6
	s_mul_i32 s7, s4, 7
	s_add_u32 s6, s4, 1
	v_sub_co_u32 v0, s2, s2, s7
	s_mul_hi_u32 s7, s4, 7
	s_addc_u32 s8, s5, 0
	s_mul_i32 s9, s5, 7
	s_delay_alu instid0(VALU_DEP_1)
	v_sub_co_u32 v1, s10, v0, 7
	s_add_u32 s11, s4, 2
	s_addc_u32 s12, s5, 0
	s_add_i32 s7, s7, s9
	s_cmp_lg_u32 s2, 0
	v_readfirstlane_b32 s2, v1
	s_subb_u32 s3, s3, s7
	s_cmp_lg_u32 s10, 0
	s_subb_u32 s7, s3, 0
	s_delay_alu instid0(VALU_DEP_1) | instskip(SKIP_4) | instid1(SALU_CYCLE_1)
	s_cmp_gt_u32 s2, 6
	s_cselect_b32 s2, -1, 0
	s_cmp_eq_u32 s7, 0
	v_readfirstlane_b32 s7, v0
	s_cselect_b32 s2, s2, -1
	s_cmp_lg_u32 s2, 0
	s_cselect_b32 s2, s11, s6
	s_cselect_b32 s6, s12, s8
	s_cmp_gt_u32 s7, 6
	s_cselect_b32 s7, -1, 0
	s_cmp_eq_u32 s3, 0
	s_cselect_b32 s3, s7, -1
	s_delay_alu instid0(SALU_CYCLE_1) | instskip(SKIP_4) | instid1(SALU_CYCLE_1)
	s_cmp_lg_u32 s3, 0
	s_cselect_b32 s2, s2, s4
	s_cselect_b32 s3, s6, s5
	s_add_u32 s30, s2, 1
	s_addc_u32 s31, s3, 0
	v_cmp_lt_u64_e64 s2, s[28:29], s[30:31]
	s_delay_alu instid0(VALU_DEP_1)
	s_and_b32 vcc_lo, exec_lo, s2
	s_cbranch_vccnz .LBB0_2
; %bb.1:
	v_cvt_f32_u32_e32 v0, s30
	s_sub_i32 s3, 0, s30
	s_mov_b32 s23, s29
	s_delay_alu instid0(VALU_DEP_1) | instskip(SKIP_2) | instid1(VALU_DEP_1)
	v_rcp_iflag_f32_e32 v0, v0
	s_waitcnt_depctr 0xfff
	v_mul_f32_e32 v0, 0x4f7ffffe, v0
	v_cvt_u32_f32_e32 v0, v0
	s_delay_alu instid0(VALU_DEP_1) | instskip(NEXT) | instid1(VALU_DEP_1)
	v_readfirstlane_b32 s2, v0
	s_mul_i32 s3, s3, s2
	s_delay_alu instid0(SALU_CYCLE_1) | instskip(NEXT) | instid1(SALU_CYCLE_1)
	s_mul_hi_u32 s3, s2, s3
	s_add_i32 s2, s2, s3
	s_delay_alu instid0(SALU_CYCLE_1) | instskip(NEXT) | instid1(SALU_CYCLE_1)
	s_mul_hi_u32 s2, s28, s2
	s_mul_i32 s3, s2, s30
	s_add_i32 s4, s2, 1
	s_sub_i32 s3, s28, s3
	s_delay_alu instid0(SALU_CYCLE_1)
	s_sub_i32 s5, s3, s30
	s_cmp_ge_u32 s3, s30
	s_cselect_b32 s2, s4, s2
	s_cselect_b32 s3, s5, s3
	s_add_i32 s4, s2, 1
	s_cmp_ge_u32 s3, s30
	s_cselect_b32 s22, s4, s2
.LBB0_2:
	s_load_b128 s[12:15], s[18:19], 0x0
	s_load_b128 s[4:7], s[26:27], 0x0
	s_clause 0x1
	s_load_b128 s[8:11], s[0:1], 0x8
	s_load_b64 s[48:49], s[0:1], 0x0
	s_mul_i32 s2, s22, s31
	s_mul_hi_u32 s3, s22, s30
	s_waitcnt lgkmcnt(0)
	s_mul_i32 s13, s22, s30
	s_add_i32 s3, s3, s2
	s_sub_u32 s33, s28, s13
	s_subb_u32 s2, 0, s3
	s_mul_hi_u32 s13, s33, 7
	s_mul_i32 s20, s2, 7
	s_load_b128 s[0:3], s[0:1], 0x60
	s_add_i32 s13, s13, s20
	s_mul_i32 s33, s33, 7
	s_mul_i32 s20, s14, s13
	s_mul_hi_u32 s21, s14, s33
	v_cmp_lt_u64_e64 s38, s[10:11], 3
	s_mul_i32 s35, s6, s13
	s_mul_hi_u32 s36, s6, s33
	s_mul_i32 s34, s15, s33
	s_mul_i32 s37, s7, s33
	s_add_i32 s20, s21, s20
	s_add_i32 s21, s36, s35
	;; [unrolled: 1-line block ×3, first 2 shown]
	s_mul_i32 s46, s14, s33
	s_add_i32 s21, s21, s37
	s_and_b32 vcc_lo, exec_lo, s38
	s_mul_i32 s20, s6, s33
	s_cbranch_vccnz .LBB0_12
; %bb.3:
	s_add_u32 s34, s26, 16
	s_addc_u32 s35, s27, 0
	s_add_u32 s36, s18, 16
	s_addc_u32 s37, s19, 0
	;; [unrolled: 2-line block ×3, first 2 shown]
	s_mov_b64 s[38:39], 2
	s_mov_b32 s40, 0
.LBB0_4:                                ; =>This Inner Loop Header: Depth=1
	s_load_b64 s[42:43], s[16:17], 0x0
	s_waitcnt lgkmcnt(0)
	s_or_b64 s[44:45], s[22:23], s[42:43]
	s_delay_alu instid0(SALU_CYCLE_1) | instskip(NEXT) | instid1(SALU_CYCLE_1)
	s_mov_b32 s41, s45
                                        ; implicit-def: $sgpr44_sgpr45
	s_cmp_lg_u64 s[40:41], 0
	s_mov_b32 s41, -1
	s_cbranch_scc0 .LBB0_6
; %bb.5:                                ;   in Loop: Header=BB0_4 Depth=1
	v_cvt_f32_u32_e32 v0, s42
	v_cvt_f32_u32_e32 v1, s43
	s_sub_u32 s45, 0, s42
	s_subb_u32 s50, 0, s43
	s_delay_alu instid0(VALU_DEP_1) | instskip(NEXT) | instid1(VALU_DEP_1)
	v_fmac_f32_e32 v0, 0x4f800000, v1
	v_rcp_f32_e32 v0, v0
	s_waitcnt_depctr 0xfff
	v_mul_f32_e32 v0, 0x5f7ffffc, v0
	s_delay_alu instid0(VALU_DEP_1) | instskip(NEXT) | instid1(VALU_DEP_1)
	v_mul_f32_e32 v1, 0x2f800000, v0
	v_trunc_f32_e32 v1, v1
	s_delay_alu instid0(VALU_DEP_1) | instskip(SKIP_1) | instid1(VALU_DEP_2)
	v_fmac_f32_e32 v0, 0xcf800000, v1
	v_cvt_u32_f32_e32 v1, v1
	v_cvt_u32_f32_e32 v0, v0
	s_delay_alu instid0(VALU_DEP_2) | instskip(NEXT) | instid1(VALU_DEP_2)
	v_readfirstlane_b32 s41, v1
	v_readfirstlane_b32 s44, v0
	s_delay_alu instid0(VALU_DEP_2) | instskip(NEXT) | instid1(VALU_DEP_1)
	s_mul_i32 s51, s45, s41
	s_mul_hi_u32 s53, s45, s44
	s_mul_i32 s52, s50, s44
	s_add_i32 s51, s53, s51
	s_mul_i32 s54, s45, s44
	s_add_i32 s51, s51, s52
	s_mul_hi_u32 s53, s44, s54
	s_mul_hi_u32 s55, s41, s54
	s_mul_i32 s52, s41, s54
	s_mul_hi_u32 s54, s44, s51
	s_mul_i32 s44, s44, s51
	s_mul_hi_u32 s56, s41, s51
	s_add_u32 s44, s53, s44
	s_addc_u32 s53, 0, s54
	s_add_u32 s44, s44, s52
	s_mul_i32 s51, s41, s51
	s_addc_u32 s44, s53, s55
	s_addc_u32 s52, s56, 0
	s_add_u32 s44, s44, s51
	s_addc_u32 s51, 0, s52
	v_add_co_u32 v0, s44, v0, s44
	s_delay_alu instid0(VALU_DEP_1) | instskip(SKIP_1) | instid1(VALU_DEP_1)
	s_cmp_lg_u32 s44, 0
	s_addc_u32 s41, s41, s51
	v_readfirstlane_b32 s44, v0
	s_mul_i32 s51, s45, s41
	s_delay_alu instid0(VALU_DEP_1)
	s_mul_hi_u32 s52, s45, s44
	s_mul_i32 s50, s50, s44
	s_add_i32 s51, s52, s51
	s_mul_i32 s45, s45, s44
	s_add_i32 s51, s51, s50
	s_mul_hi_u32 s52, s41, s45
	s_mul_i32 s53, s41, s45
	s_mul_hi_u32 s45, s44, s45
	s_mul_hi_u32 s54, s44, s51
	s_mul_i32 s44, s44, s51
	s_mul_hi_u32 s50, s41, s51
	s_add_u32 s44, s45, s44
	s_addc_u32 s45, 0, s54
	s_add_u32 s44, s44, s53
	s_mul_i32 s51, s41, s51
	s_addc_u32 s44, s45, s52
	s_addc_u32 s45, s50, 0
	s_add_u32 s44, s44, s51
	s_addc_u32 s45, 0, s45
	v_add_co_u32 v0, s44, v0, s44
	s_delay_alu instid0(VALU_DEP_1) | instskip(SKIP_1) | instid1(VALU_DEP_1)
	s_cmp_lg_u32 s44, 0
	s_addc_u32 s41, s41, s45
	v_readfirstlane_b32 s44, v0
	s_mul_i32 s50, s22, s41
	s_mul_hi_u32 s45, s22, s41
	s_mul_hi_u32 s51, s23, s41
	s_mul_i32 s41, s23, s41
	s_mul_hi_u32 s52, s22, s44
	s_mul_hi_u32 s53, s23, s44
	s_mul_i32 s44, s23, s44
	s_add_u32 s50, s52, s50
	s_addc_u32 s45, 0, s45
	s_add_u32 s44, s50, s44
	s_addc_u32 s44, s45, s53
	s_addc_u32 s45, s51, 0
	s_add_u32 s44, s44, s41
	s_addc_u32 s45, 0, s45
	s_mul_hi_u32 s41, s42, s44
	s_mul_i32 s51, s42, s45
	s_mul_i32 s52, s42, s44
	s_add_i32 s41, s41, s51
	v_sub_co_u32 v0, s51, s22, s52
	s_mul_i32 s50, s43, s44
	s_delay_alu instid0(SALU_CYCLE_1) | instskip(NEXT) | instid1(VALU_DEP_1)
	s_add_i32 s41, s41, s50
	v_sub_co_u32 v1, s52, v0, s42
	s_sub_i32 s50, s23, s41
	s_cmp_lg_u32 s51, 0
	s_subb_u32 s50, s50, s43
	s_cmp_lg_u32 s52, 0
	v_readfirstlane_b32 s52, v1
	s_subb_u32 s50, s50, 0
	s_delay_alu instid0(SALU_CYCLE_1) | instskip(SKIP_1) | instid1(VALU_DEP_1)
	s_cmp_ge_u32 s50, s43
	s_cselect_b32 s53, -1, 0
	s_cmp_ge_u32 s52, s42
	s_cselect_b32 s52, -1, 0
	s_cmp_eq_u32 s50, s43
	s_cselect_b32 s50, s52, s53
	s_add_u32 s52, s44, 1
	s_addc_u32 s53, s45, 0
	s_add_u32 s54, s44, 2
	s_addc_u32 s55, s45, 0
	s_cmp_lg_u32 s50, 0
	s_cselect_b32 s50, s54, s52
	s_cselect_b32 s52, s55, s53
	s_cmp_lg_u32 s51, 0
	v_readfirstlane_b32 s51, v0
	s_subb_u32 s41, s23, s41
	s_delay_alu instid0(SALU_CYCLE_1) | instskip(SKIP_1) | instid1(VALU_DEP_1)
	s_cmp_ge_u32 s41, s43
	s_cselect_b32 s53, -1, 0
	s_cmp_ge_u32 s51, s42
	s_cselect_b32 s51, -1, 0
	s_cmp_eq_u32 s41, s43
	s_cselect_b32 s41, s51, s53
	s_delay_alu instid0(SALU_CYCLE_1)
	s_cmp_lg_u32 s41, 0
	s_mov_b32 s41, 0
	s_cselect_b32 s45, s52, s45
	s_cselect_b32 s44, s50, s44
.LBB0_6:                                ;   in Loop: Header=BB0_4 Depth=1
	s_and_not1_b32 vcc_lo, exec_lo, s41
	s_cbranch_vccnz .LBB0_8
; %bb.7:                                ;   in Loop: Header=BB0_4 Depth=1
	v_cvt_f32_u32_e32 v0, s42
	s_sub_i32 s44, 0, s42
	s_waitcnt_depctr 0xfff
	v_rcp_iflag_f32_e32 v0, v0
	s_waitcnt_depctr 0xfff
	v_mul_f32_e32 v0, 0x4f7ffffe, v0
	s_delay_alu instid0(VALU_DEP_1) | instskip(NEXT) | instid1(VALU_DEP_1)
	v_cvt_u32_f32_e32 v0, v0
	v_readfirstlane_b32 s41, v0
	s_delay_alu instid0(VALU_DEP_1) | instskip(NEXT) | instid1(SALU_CYCLE_1)
	s_mul_i32 s44, s44, s41
	s_mul_hi_u32 s44, s41, s44
	s_delay_alu instid0(SALU_CYCLE_1) | instskip(NEXT) | instid1(SALU_CYCLE_1)
	s_add_i32 s41, s41, s44
	s_mul_hi_u32 s41, s22, s41
	s_delay_alu instid0(SALU_CYCLE_1) | instskip(SKIP_2) | instid1(SALU_CYCLE_1)
	s_mul_i32 s44, s41, s42
	s_add_i32 s45, s41, 1
	s_sub_i32 s44, s22, s44
	s_sub_i32 s50, s44, s42
	s_cmp_ge_u32 s44, s42
	s_cselect_b32 s41, s45, s41
	s_cselect_b32 s44, s50, s44
	s_add_i32 s45, s41, 1
	s_cmp_ge_u32 s44, s42
	s_cselect_b32 s44, s45, s41
	s_mov_b32 s45, s40
.LBB0_8:                                ;   in Loop: Header=BB0_4 Depth=1
	s_load_b64 s[50:51], s[36:37], 0x0
	s_load_b64 s[52:53], s[34:35], 0x0
	s_mul_i32 s31, s42, s31
	s_mul_hi_u32 s41, s42, s30
	s_mul_i32 s54, s43, s30
	s_mul_i32 s43, s44, s43
	s_mul_hi_u32 s55, s44, s42
	s_mul_i32 s56, s45, s42
	s_add_i32 s31, s41, s31
	s_add_i32 s41, s55, s43
	s_mul_i32 s57, s44, s42
	s_add_i32 s31, s31, s54
	s_add_i32 s41, s41, s56
	s_sub_u32 s22, s22, s57
	s_subb_u32 s23, s23, s41
	s_mul_i32 s30, s42, s30
	s_waitcnt lgkmcnt(0)
	s_mul_i32 s41, s50, s23
	s_mul_hi_u32 s43, s50, s22
	s_mul_i32 s51, s51, s22
	s_add_i32 s41, s43, s41
	s_mul_i32 s50, s50, s22
	s_mul_i32 s23, s52, s23
	s_mul_hi_u32 s43, s52, s22
	s_add_i32 s41, s41, s51
	s_add_u32 s46, s50, s46
	s_addc_u32 s47, s41, s47
	s_add_i32 s23, s43, s23
	s_mul_i32 s41, s53, s22
	s_mul_i32 s22, s52, s22
	s_add_i32 s23, s23, s41
	s_add_u32 s20, s22, s20
	s_addc_u32 s21, s23, s21
	s_add_u32 s38, s38, 1
	s_addc_u32 s39, s39, 0
	s_add_u32 s34, s34, 8
	v_cmp_ge_u64_e64 s22, s[38:39], s[10:11]
	s_addc_u32 s35, s35, 0
	s_add_u32 s36, s36, 8
	s_addc_u32 s37, s37, 0
	s_add_u32 s16, s16, 8
	s_addc_u32 s17, s17, 0
	s_and_b32 vcc_lo, exec_lo, s22
	s_cbranch_vccnz .LBB0_10
; %bb.9:                                ;   in Loop: Header=BB0_4 Depth=1
	s_mov_b64 s[22:23], s[44:45]
	s_branch .LBB0_4
.LBB0_10:
	v_cmp_lt_u64_e64 s16, s[28:29], s[30:31]
	s_mov_b64 s[22:23], 0
	s_delay_alu instid0(VALU_DEP_1)
	s_and_b32 vcc_lo, exec_lo, s16
	s_cbranch_vccnz .LBB0_12
; %bb.11:
	v_cvt_f32_u32_e32 v0, s30
	s_sub_i32 s17, 0, s30
	s_delay_alu instid0(VALU_DEP_1) | instskip(SKIP_2) | instid1(VALU_DEP_1)
	v_rcp_iflag_f32_e32 v0, v0
	s_waitcnt_depctr 0xfff
	v_mul_f32_e32 v0, 0x4f7ffffe, v0
	v_cvt_u32_f32_e32 v0, v0
	s_delay_alu instid0(VALU_DEP_1) | instskip(NEXT) | instid1(VALU_DEP_1)
	v_readfirstlane_b32 s16, v0
	s_mul_i32 s17, s17, s16
	s_delay_alu instid0(SALU_CYCLE_1) | instskip(NEXT) | instid1(SALU_CYCLE_1)
	s_mul_hi_u32 s17, s16, s17
	s_add_i32 s16, s16, s17
	s_delay_alu instid0(SALU_CYCLE_1) | instskip(NEXT) | instid1(SALU_CYCLE_1)
	s_mul_hi_u32 s16, s28, s16
	s_mul_i32 s17, s16, s30
	s_add_i32 s22, s16, 1
	s_sub_i32 s17, s28, s17
	s_delay_alu instid0(SALU_CYCLE_1)
	s_sub_i32 s23, s17, s30
	s_cmp_ge_u32 s17, s30
	s_cselect_b32 s16, s22, s16
	s_cselect_b32 s17, s23, s17
	s_add_i32 s22, s16, 1
	s_cmp_ge_u32 s17, s30
	s_cselect_b32 s22, s22, s16
.LBB0_12:
	v_mul_u32_u24_e32 v0, 0x2493, v2
	s_lshl_b64 s[16:17], s[10:11], 3
	v_mov_b32_e32 v7, 0
	s_add_u32 s10, s18, s16
	s_addc_u32 s11, s19, s17
	v_lshrrev_b32_e32 v255, 16, v0
	s_load_b64 s[10:11], s[10:11], 0x0
	v_mov_b32_e32 v8, 0
	s_delay_alu instid0(VALU_DEP_2) | instskip(NEXT) | instid1(VALU_DEP_1)
	v_mul_lo_u16 v0, v255, 7
	v_sub_nc_u16 v0, v2, v0
	s_delay_alu instid0(VALU_DEP_1) | instskip(NEXT) | instid1(VALU_DEP_1)
	v_and_b32_e32 v0, 0xffff, v0
	v_mad_u64_u32 v[69:70], null, s14, v0, 0
	s_waitcnt lgkmcnt(0)
	s_mul_i32 s10, s10, s22
	s_delay_alu instid0(SALU_CYCLE_1) | instskip(SKIP_3) | instid1(VALU_DEP_1)
	s_add_u32 s10, s10, s46
	s_add_u32 s46, s26, s16
	s_addc_u32 s47, s27, s17
	s_add_u32 s16, s33, 7
	v_mov_b32_e32 v1, v70
	v_add_co_u32 v113, s11, s33, v0
	s_delay_alu instid0(VALU_DEP_1)
	v_add_co_ci_u32_e64 v114, null, s13, 0, s11
	s_addc_u32 s17, s13, 0
	s_clause 0x1
	scratch_store_b32 off, v2, off offset:180
	scratch_store_b32 off, v0, off
	v_cmp_le_u64_e64 s11, s[16:17], s[24:25]
	v_cmp_gt_u64_e32 vcc_lo, s[24:25], v[113:114]
	v_mad_u64_u32 v[2:3], null, s15, v0, v[1:2]
	v_dual_mov_b32 v3, v7 :: v_dual_mov_b32 v4, v8
	v_dual_mov_b32 v1, v7 :: v_dual_mov_b32 v2, v8
	s_or_b32 s23, s11, vcc_lo
	s_delay_alu instid0(SALU_CYCLE_1)
	s_and_saveexec_b32 s11, s23
	s_cbranch_execz .LBB0_14
; %bb.13:
	v_mul_lo_u32 v0, s12, v255
	v_mov_b32_e32 v2, 0
	s_delay_alu instid0(VALU_DEP_2) | instskip(NEXT) | instid1(VALU_DEP_1)
	v_add3_u32 v1, s10, v69, v0
	v_lshlrev_b64 v[1:2], 4, v[1:2]
	s_delay_alu instid0(VALU_DEP_1) | instskip(NEXT) | instid1(VALU_DEP_2)
	v_add_co_u32 v1, vcc_lo, s0, v1
	v_add_co_ci_u32_e32 v2, vcc_lo, s1, v2, vcc_lo
	global_load_b128 v[1:4], v[1:2], off
.LBB0_14:
	s_or_b32 exec_lo, exec_lo, s11
	v_dual_mov_b32 v5, v7 :: v_dual_mov_b32 v6, v8
	s_and_saveexec_b32 s11, s23
	s_cbranch_execz .LBB0_16
; %bb.15:
	v_add_nc_u32_e32 v0, 17, v255
	v_mov_b32_e32 v6, 0
	s_delay_alu instid0(VALU_DEP_2) | instskip(NEXT) | instid1(VALU_DEP_1)
	v_mul_lo_u32 v0, s12, v0
	v_add3_u32 v5, s10, v69, v0
	s_delay_alu instid0(VALU_DEP_1) | instskip(NEXT) | instid1(VALU_DEP_1)
	v_lshlrev_b64 v[5:6], 4, v[5:6]
	v_add_co_u32 v5, vcc_lo, s0, v5
	s_delay_alu instid0(VALU_DEP_2)
	v_add_co_ci_u32_e32 v6, vcc_lo, s1, v6, vcc_lo
	global_load_b128 v[5:8], v[5:6], off
.LBB0_16:
	s_or_b32 exec_lo, exec_lo, s11
	v_mov_b32_e32 v15, 0
	v_mov_b32_e32 v16, 0
	s_delay_alu instid0(VALU_DEP_2) | instskip(NEXT) | instid1(VALU_DEP_2)
	v_mov_b32_e32 v11, v15
	v_dual_mov_b32 v9, v15 :: v_dual_mov_b32 v10, v16
	v_mov_b32_e32 v12, v16
	s_and_saveexec_b32 s11, s23
	s_cbranch_execz .LBB0_18
; %bb.17:
	v_add_nc_u32_e32 v0, 34, v255
	v_mov_b32_e32 v10, 0
	s_delay_alu instid0(VALU_DEP_2) | instskip(NEXT) | instid1(VALU_DEP_1)
	v_mul_lo_u32 v0, s12, v0
	v_add3_u32 v9, s10, v69, v0
	s_delay_alu instid0(VALU_DEP_1) | instskip(NEXT) | instid1(VALU_DEP_1)
	v_lshlrev_b64 v[9:10], 4, v[9:10]
	v_add_co_u32 v9, vcc_lo, s0, v9
	s_delay_alu instid0(VALU_DEP_2)
	v_add_co_ci_u32_e32 v10, vcc_lo, s1, v10, vcc_lo
	global_load_b128 v[9:12], v[9:10], off
.LBB0_18:
	s_or_b32 exec_lo, exec_lo, s11
	v_dual_mov_b32 v13, v15 :: v_dual_mov_b32 v14, v16
	s_and_saveexec_b32 s11, s23
	s_cbranch_execz .LBB0_20
; %bb.19:
	v_add_nc_u32_e32 v0, 51, v255
	v_mov_b32_e32 v14, 0
	s_delay_alu instid0(VALU_DEP_2) | instskip(NEXT) | instid1(VALU_DEP_1)
	v_mul_lo_u32 v0, s12, v0
	v_add3_u32 v13, s10, v69, v0
	s_delay_alu instid0(VALU_DEP_1) | instskip(NEXT) | instid1(VALU_DEP_1)
	v_lshlrev_b64 v[13:14], 4, v[13:14]
	v_add_co_u32 v13, vcc_lo, s0, v13
	s_delay_alu instid0(VALU_DEP_2)
	v_add_co_ci_u32_e32 v14, vcc_lo, s1, v14, vcc_lo
	global_load_b128 v[13:16], v[13:14], off
.LBB0_20:
	s_or_b32 exec_lo, exec_lo, s11
	v_mov_b32_e32 v23, 0
	v_mov_b32_e32 v24, 0
	s_delay_alu instid0(VALU_DEP_2) | instskip(NEXT) | instid1(VALU_DEP_2)
	v_mov_b32_e32 v19, v23
	v_dual_mov_b32 v17, v23 :: v_dual_mov_b32 v18, v24
	v_mov_b32_e32 v20, v24
	s_and_saveexec_b32 s11, s23
	s_cbranch_execz .LBB0_22
; %bb.21:
	v_add_nc_u32_e32 v0, 0x44, v255
	v_mov_b32_e32 v18, 0
	s_delay_alu instid0(VALU_DEP_2) | instskip(NEXT) | instid1(VALU_DEP_1)
	v_mul_lo_u32 v0, s12, v0
	v_add3_u32 v17, s10, v69, v0
	s_delay_alu instid0(VALU_DEP_1) | instskip(NEXT) | instid1(VALU_DEP_1)
	v_lshlrev_b64 v[17:18], 4, v[17:18]
	v_add_co_u32 v17, vcc_lo, s0, v17
	s_delay_alu instid0(VALU_DEP_2)
	v_add_co_ci_u32_e32 v18, vcc_lo, s1, v18, vcc_lo
	global_load_b128 v[17:20], v[17:18], off
.LBB0_22:
	;; [unrolled: 39-line block ×3, first 2 shown]
	s_or_b32 exec_lo, exec_lo, s11
	v_dual_mov_b32 v29, v31 :: v_dual_mov_b32 v30, v32
	s_and_saveexec_b32 s11, s23
	s_cbranch_execz .LBB0_28
; %bb.27:
	v_add_nc_u32_e32 v0, 0x77, v255
	v_mov_b32_e32 v30, 0
	s_delay_alu instid0(VALU_DEP_2) | instskip(NEXT) | instid1(VALU_DEP_1)
	v_mul_lo_u32 v0, s12, v0
	v_add3_u32 v29, s10, v69, v0
	s_delay_alu instid0(VALU_DEP_1) | instskip(NEXT) | instid1(VALU_DEP_1)
	v_lshlrev_b64 v[29:30], 4, v[29:30]
	v_add_co_u32 v29, vcc_lo, s0, v29
	s_delay_alu instid0(VALU_DEP_2)
	v_add_co_ci_u32_e32 v30, vcc_lo, s1, v30, vcc_lo
	global_load_b128 v[29:32], v[29:30], off
.LBB0_28:
	s_or_b32 exec_lo, exec_lo, s11
	v_mov_b32_e32 v35, 0
	v_mov_b32_e32 v36, 0
	s_delay_alu instid0(VALU_DEP_1)
	v_dual_mov_b32 v40, v36 :: v_dual_mov_b32 v39, v35
	v_dual_mov_b32 v38, v36 :: v_dual_mov_b32 v37, v35
	s_and_saveexec_b32 s11, s23
	s_cbranch_execz .LBB0_30
; %bb.29:
	v_add_nc_u32_e32 v0, 0x88, v255
	v_mov_b32_e32 v34, 0
	s_delay_alu instid0(VALU_DEP_2) | instskip(NEXT) | instid1(VALU_DEP_1)
	v_mul_lo_u32 v0, s12, v0
	v_add3_u32 v33, s10, v69, v0
	s_delay_alu instid0(VALU_DEP_1) | instskip(NEXT) | instid1(VALU_DEP_1)
	v_lshlrev_b64 v[33:34], 4, v[33:34]
	v_add_co_u32 v33, vcc_lo, s0, v33
	s_delay_alu instid0(VALU_DEP_2)
	v_add_co_ci_u32_e32 v34, vcc_lo, s1, v34, vcc_lo
	global_load_b128 v[37:40], v[33:34], off
.LBB0_30:
	s_or_b32 exec_lo, exec_lo, s11
	v_dual_mov_b32 v33, v35 :: v_dual_mov_b32 v34, v36
	s_and_saveexec_b32 s11, s23
	s_cbranch_execz .LBB0_32
; %bb.31:
	v_add_nc_u32_e32 v0, 0x99, v255
	v_mov_b32_e32 v34, 0
	s_delay_alu instid0(VALU_DEP_2) | instskip(NEXT) | instid1(VALU_DEP_1)
	v_mul_lo_u32 v0, s12, v0
	v_add3_u32 v33, s10, v69, v0
	s_delay_alu instid0(VALU_DEP_1) | instskip(NEXT) | instid1(VALU_DEP_1)
	v_lshlrev_b64 v[33:34], 4, v[33:34]
	v_add_co_u32 v33, vcc_lo, s0, v33
	s_delay_alu instid0(VALU_DEP_2)
	v_add_co_ci_u32_e32 v34, vcc_lo, s1, v34, vcc_lo
	global_load_b128 v[33:36], v[33:34], off
.LBB0_32:
	s_or_b32 exec_lo, exec_lo, s11
	v_mov_b32_e32 v43, 0
	v_mov_b32_e32 v44, 0
	s_delay_alu instid0(VALU_DEP_1)
	v_dual_mov_b32 v48, v44 :: v_dual_mov_b32 v47, v43
	v_dual_mov_b32 v46, v44 :: v_dual_mov_b32 v45, v43
	s_and_saveexec_b32 s11, s23
	s_cbranch_execz .LBB0_34
; %bb.33:
	v_add_nc_u32_e32 v0, 0xaa, v255
	v_mov_b32_e32 v42, 0
	s_delay_alu instid0(VALU_DEP_2) | instskip(NEXT) | instid1(VALU_DEP_1)
	v_mul_lo_u32 v0, s12, v0
	v_add3_u32 v41, s10, v69, v0
	s_delay_alu instid0(VALU_DEP_1) | instskip(NEXT) | instid1(VALU_DEP_1)
	v_lshlrev_b64 v[41:42], 4, v[41:42]
	v_add_co_u32 v41, vcc_lo, s0, v41
	s_delay_alu instid0(VALU_DEP_2)
	v_add_co_ci_u32_e32 v42, vcc_lo, s1, v42, vcc_lo
	global_load_b128 v[45:48], v[41:42], off
.LBB0_34:
	;; [unrolled: 38-line block ×4, first 2 shown]
	s_or_b32 exec_lo, exec_lo, s11
	v_dual_mov_b32 v57, v59 :: v_dual_mov_b32 v58, v60
	s_and_saveexec_b32 s11, s23
	s_cbranch_execz .LBB0_44
; %bb.43:
	v_add_nc_u32_e32 v0, 0xff, v255
	v_mov_b32_e32 v58, 0
	s_delay_alu instid0(VALU_DEP_2) | instskip(NEXT) | instid1(VALU_DEP_1)
	v_mul_lo_u32 v0, s12, v0
	v_add3_u32 v57, s10, v69, v0
	s_delay_alu instid0(VALU_DEP_1) | instskip(NEXT) | instid1(VALU_DEP_1)
	v_lshlrev_b64 v[57:58], 4, v[57:58]
	v_add_co_u32 v57, vcc_lo, s0, v57
	s_delay_alu instid0(VALU_DEP_2)
	v_add_co_ci_u32_e32 v58, vcc_lo, s1, v58, vcc_lo
	global_load_b128 v[57:60], v[57:58], off
.LBB0_44:
	s_or_b32 exec_lo, exec_lo, s11
	v_mov_b32_e32 v67, 0
	v_mov_b32_e32 v68, 0
	s_delay_alu instid0(VALU_DEP_1)
	v_dual_mov_b32 v65, v67 :: v_dual_mov_b32 v66, v68
	s_and_saveexec_b32 s11, s23
	s_cbranch_execz .LBB0_46
; %bb.45:
	v_add_nc_u32_e32 v0, 0x110, v255
	v_mov_b32_e32 v66, 0
	s_delay_alu instid0(VALU_DEP_2) | instskip(NEXT) | instid1(VALU_DEP_1)
	v_mul_lo_u32 v0, s12, v0
	v_add3_u32 v65, s10, v69, v0
	s_delay_alu instid0(VALU_DEP_1) | instskip(NEXT) | instid1(VALU_DEP_1)
	v_lshlrev_b64 v[65:66], 4, v[65:66]
	v_add_co_u32 v65, vcc_lo, s0, v65
	s_delay_alu instid0(VALU_DEP_2)
	v_add_co_ci_u32_e32 v66, vcc_lo, s1, v66, vcc_lo
	global_load_b128 v[65:68], v[65:66], off
.LBB0_46:
	s_or_b32 exec_lo, exec_lo, s11
	s_waitcnt vmcnt(0)
	v_add_f64 v[69:70], v[1:2], v[5:6]
	v_add_f64 v[71:72], v[3:4], v[7:8]
	;; [unrolled: 1-line block ×3, first 2 shown]
	v_add_f64 v[126:127], v[37:38], -v[33:34]
	v_add_f64 v[136:137], v[25:26], v[41:42]
	v_add_f64 v[134:135], v[25:26], -v[41:42]
	v_add_f64 v[132:133], v[29:30], v[45:46]
	;; [unrolled: 2-line block ×6, first 2 shown]
	v_add_f64 v[176:177], v[9:10], -v[57:58]
	s_mov_b32 s0, 0x370991
	s_mov_b32 s14, 0x75d4884
	s_mov_b32 s24, 0x2b2883cd
	s_mov_b32 s36, 0x3259b75e
	s_mov_b32 s30, 0xc61f0d01
	s_mov_b32 s26, 0x6ed5f1bb
	s_mov_b32 s18, 0x910ea3b9
	s_mov_b32 s12, 0x7faef3
	s_mov_b32 s1, 0x3fedd6d0
	s_mov_b32 s15, 0x3fe7a5f6
	s_mov_b32 s25, 0x3fdc86fa
	s_mov_b32 s37, 0x3fb79ee6
	s_mov_b32 s31, 0xbfd183b1
	s_mov_b32 s27, 0xbfe348c8
	s_mov_b32 s19, 0xbfeb34fa
	s_mov_b32 s13, 0xbfef7484
	s_mov_b32 s10, 0x5d8e7cdc
	s_mov_b32 s16, 0x2a9d6da3
	s_mov_b32 s28, 0x7c9e640b
	s_mov_b32 s44, 0xeb564b22
	s_mov_b32 s56, 0x923c349f
	s_mov_b32 s52, 0x6c9a05f6
	v_add_f64 v[69:70], v[69:70], v[9:10]
	v_add_f64 v[71:72], v[71:72], v[11:12]
	s_mov_b32 s62, 0x4363dd80
	s_mov_b32 s64, 0xacd6c6b4
	;; [unrolled: 1-line block ×26, first 2 shown]
	v_mul_f64 v[109:110], v[140:141], s[18:19]
	v_mul_f64 v[111:112], v[138:139], s[62:63]
	;; [unrolled: 1-line block ×10, first 2 shown]
	v_add_f64 v[69:70], v[69:70], v[13:14]
	v_add_f64 v[71:72], v[71:72], v[15:16]
	v_mul_f64 v[158:159], v[140:141], s[14:15]
	v_mul_f64 v[160:161], v[138:139], s[16:17]
	;; [unrolled: 1-line block ×28, first 2 shown]
	v_add_f64 v[69:70], v[69:70], v[17:18]
	v_add_f64 v[71:72], v[71:72], v[19:20]
	s_delay_alu instid0(VALU_DEP_2) | instskip(NEXT) | instid1(VALU_DEP_2)
	v_add_f64 v[69:70], v[69:70], v[21:22]
	v_add_f64 v[71:72], v[71:72], v[23:24]
	s_delay_alu instid0(VALU_DEP_2) | instskip(NEXT) | instid1(VALU_DEP_2)
	v_add_f64 v[69:70], v[69:70], v[25:26]
	v_add_f64 v[71:72], v[71:72], v[27:28]
	v_add_f64 v[25:26], v[27:28], -v[43:44]
	s_delay_alu instid0(VALU_DEP_3) | instskip(NEXT) | instid1(VALU_DEP_3)
	v_add_f64 v[69:70], v[69:70], v[29:30]
	v_add_f64 v[73:74], v[71:72], v[31:32]
	v_add_f64 v[29:30], v[31:32], -v[47:48]
	s_delay_alu instid0(VALU_DEP_3) | instskip(NEXT) | instid1(VALU_DEP_3)
	v_add_f64 v[71:72], v[69:70], v[37:38]
	v_add_f64 v[73:74], v[73:74], v[39:40]
	;; [unrolled: 1-line block ×3, first 2 shown]
	v_add_f64 v[37:38], v[39:40], -v[35:36]
	s_delay_alu instid0(VALU_DEP_4) | instskip(NEXT) | instid1(VALU_DEP_4)
	v_add_f64 v[39:40], v[71:72], v[33:34]
	v_add_f64 v[35:36], v[73:74], v[35:36]
	;; [unrolled: 1-line block ×7, first 2 shown]
	v_add_f64 v[45:46], v[15:16], -v[63:64]
	v_add_f64 v[47:48], v[11:12], v[59:60]
	s_delay_alu instid0(VALU_DEP_4) | instskip(NEXT) | instid1(VALU_DEP_4)
	v_add_f64 v[39:40], v[39:40], v[41:42]
	v_add_f64 v[41:42], v[35:36], v[43:44]
	v_add_f64 v[35:36], v[23:24], -v[55:56]
	v_add_f64 v[43:44], v[15:16], v[63:64]
	s_delay_alu instid0(VALU_DEP_4) | instskip(NEXT) | instid1(VALU_DEP_4)
	v_add_f64 v[21:22], v[39:40], v[53:54]
	v_add_f64 v[23:24], v[41:42], v[55:56]
	;; [unrolled: 1-line block ×3, first 2 shown]
	v_add_f64 v[41:42], v[19:20], -v[51:52]
	s_delay_alu instid0(VALU_DEP_4) | instskip(NEXT) | instid1(VALU_DEP_4)
	v_add_f64 v[17:18], v[21:22], v[49:50]
	v_add_f64 v[19:20], v[23:24], v[51:52]
	v_add_f64 v[49:50], v[11:12], -v[59:60]
	s_delay_alu instid0(VALU_DEP_3) | instskip(NEXT) | instid1(VALU_DEP_3)
	v_add_f64 v[13:14], v[17:18], v[61:62]
	v_add_f64 v[15:16], v[19:20], v[63:64]
	v_add_f64 v[17:18], v[5:6], -v[65:66]
	v_add_f64 v[19:20], v[7:8], -v[67:68]
	s_delay_alu instid0(VALU_DEP_4) | instskip(NEXT) | instid1(VALU_DEP_4)
	v_add_f64 v[9:10], v[13:14], v[57:58]
	v_add_f64 v[11:12], v[15:16], v[59:60]
	;; [unrolled: 1-line block ×4, first 2 shown]
	v_mul_f64 v[81:82], v[17:18], s[42:43]
	v_mul_f64 v[83:84], v[17:18], s[40:41]
	;; [unrolled: 1-line block ×3, first 2 shown]
	v_add_f64 v[182:183], v[9:10], v[65:66]
	v_add_f64 v[184:185], v[11:12], v[67:68]
	v_mul_f64 v[9:10], v[13:14], s[0:1]
	v_mul_f64 v[11:12], v[13:14], s[14:15]
	;; [unrolled: 1-line block ×8, first 2 shown]
	v_fma_f64 v[101:102], v[15:16], s[30:31], v[81:82]
	v_fma_f64 v[81:82], v[15:16], s[30:31], -v[81:82]
	v_fma_f64 v[103:104], v[15:16], s[26:27], v[83:84]
	v_fma_f64 v[83:84], v[15:16], s[26:27], -v[83:84]
	;; [unrolled: 2-line block ×3, first 2 shown]
	v_fma_f64 v[57:58], v[19:20], s[10:11], v[9:10]
	v_fma_f64 v[9:10], v[19:20], s[54:55], v[9:10]
	;; [unrolled: 1-line block ×16, first 2 shown]
	v_mul_f64 v[19:20], v[17:18], s[54:55]
	v_mul_f64 v[51:52], v[17:18], s[58:59]
	;; [unrolled: 1-line block ×5, first 2 shown]
	v_add_f64 v[189:190], v[3:4], v[101:102]
	v_add_f64 v[193:194], v[3:4], v[103:104]
	;; [unrolled: 1-line block ×5, first 2 shown]
	v_mul_f64 v[83:84], v[130:131], s[38:39]
	v_mul_f64 v[85:86], v[128:129], s[12:13]
	;; [unrolled: 1-line block ×5, first 2 shown]
	v_add_f64 v[5:6], v[1:2], v[9:10]
	v_add_f64 v[9:10], v[1:2], v[59:60]
	;; [unrolled: 1-line block ×8, first 2 shown]
	v_mul_f64 v[79:80], v[134:135], s[40:41]
	v_fma_f64 v[87:88], v[15:16], s[0:1], v[19:20]
	v_fma_f64 v[19:20], v[15:16], s[0:1], -v[19:20]
	v_fma_f64 v[91:92], v[15:16], s[14:15], -v[51:52]
	;; [unrolled: 1-line block ×4, first 2 shown]
	v_fma_f64 v[89:90], v[15:16], s[14:15], v[51:52]
	v_fma_f64 v[93:94], v[15:16], s[24:25], v[53:54]
	;; [unrolled: 1-line block ×4, first 2 shown]
	v_fma_f64 v[15:16], v[15:16], s[12:13], -v[17:18]
	v_add_f64 v[17:18], v[1:2], v[57:58]
	v_mul_f64 v[71:72], v[150:151], s[30:31]
	scratch_store_b64 off, v[5:6], off offset:4 ; 8-byte Folded Spill
	v_add_f64 v[87:88], v[3:4], v[87:88]
	v_add_f64 v[5:6], v[3:4], v[19:20]
	;; [unrolled: 1-line block ×6, first 2 shown]
	v_mul_f64 v[97:98], v[178:179], s[36:37]
	v_mul_f64 v[107:108], v[146:147], s[34:35]
	scratch_store_b64 off, v[5:6], off offset:20 ; 8-byte Folded Spill
	v_add_f64 v[5:6], v[1:2], v[11:12]
	scratch_store_b64 off, v[5:6], off offset:36 ; 8-byte Folded Spill
	v_add_f64 v[5:6], v[3:4], v[91:92]
	;; [unrolled: 2-line block ×3, first 2 shown]
	v_add_f64 v[21:22], v[1:2], v[63:64]
	scratch_store_b64 off, v[5:6], off offset:124 ; 8-byte Folded Spill
	v_add_f64 v[5:6], v[3:4], v[95:96]
	scratch_store_b64 off, v[5:6], off offset:116 ; 8-byte Folded Spill
	v_add_f64 v[5:6], v[1:2], v[23:24]
	v_add_f64 v[23:24], v[1:2], v[65:66]
	scratch_store_b64 off, v[5:6], off offset:140 ; 8-byte Folded Spill
	v_add_f64 v[5:6], v[3:4], v[99:100]
	v_mul_f64 v[99:100], v[176:177], s[50:51]
	scratch_store_b64 off, v[5:6], off offset:132 ; 8-byte Folded Spill
	v_add_f64 v[5:6], v[1:2], v[67:68]
	v_add_f64 v[0:1], v[1:2], v[13:14]
	v_fma_f64 v[13:14], v[45:46], s[52:53], v[101:102]
	v_mul_f64 v[67:68], v[170:171], s[64:65]
	s_clause 0x1
	scratch_store_b64 off, v[5:6], off offset:156
	scratch_store_b64 off, v[0:1], off offset:172
	v_add_f64 v[5:6], v[3:4], v[81:82]
	v_add_f64 v[0:1], v[3:4], v[15:16]
	v_mul_f64 v[3:4], v[176:177], s[58:59]
	v_mul_f64 v[81:82], v[132:133], s[18:19]
	s_clause 0x1
	scratch_store_b64 off, v[5:6], off offset:148
	scratch_store_b64 off, v[0:1], off offset:164
	v_mul_f64 v[0:1], v[178:179], s[14:15]
	v_mul_f64 v[5:6], v[172:173], s[24:25]
	scratch_store_b64 off, v[3:4], off offset:52 ; 8-byte Folded Spill
	v_fma_f64 v[3:4], v[47:48], s[14:15], v[3:4]
	scratch_store_b64 off, v[0:1], off offset:44 ; 8-byte Folded Spill
	v_fma_f64 v[1:2], v[49:50], s[16:17], v[0:1]
	;; [unrolled: 2-line block ×3, first 2 shown]
	v_mul_f64 v[5:6], v[170:171], s[60:61]
	v_add_f64 v[3:4], v[3:4], v[87:88]
	v_mul_f64 v[87:88], v[126:127], s[34:35]
	v_add_f64 v[1:2], v[1:2], v[17:18]
	scratch_store_b64 off, v[5:6], off offset:68 ; 8-byte Folded Spill
	v_add_f64 v[1:2], v[11:12], v[1:2]
	v_fma_f64 v[11:12], v[43:44], s[24:25], v[5:6]
	v_mul_f64 v[5:6], v[150:151], s[36:37]
	s_delay_alu instid0(VALU_DEP_2) | instskip(SKIP_3) | instid1(VALU_DEP_2)
	v_add_f64 v[3:4], v[11:12], v[3:4]
	scratch_store_b64 off, v[5:6], off offset:76 ; 8-byte Folded Spill
	v_fma_f64 v[11:12], v[41:42], s[44:45], v[5:6]
	v_mul_f64 v[5:6], v[146:147], s[50:51]
	v_add_f64 v[1:2], v[11:12], v[1:2]
	scratch_store_b64 off, v[5:6], off offset:84 ; 8-byte Folded Spill
	v_fma_f64 v[11:12], v[39:40], s[36:37], v[5:6]
	v_mul_f64 v[5:6], v[140:141], s[30:31]
	s_delay_alu instid0(VALU_DEP_2) | instskip(SKIP_3) | instid1(VALU_DEP_2)
	v_add_f64 v[3:4], v[11:12], v[3:4]
	scratch_store_b64 off, v[5:6], off offset:92 ; 8-byte Folded Spill
	v_fma_f64 v[11:12], v[35:36], s[56:57], v[5:6]
	v_mul_f64 v[5:6], v[138:139], s[42:43]
	v_add_f64 v[1:2], v[11:12], v[1:2]
	scratch_store_b64 off, v[5:6], off offset:100 ; 8-byte Folded Spill
	v_fma_f64 v[11:12], v[27:28], s[30:31], v[5:6]
	v_mul_f64 v[5:6], v[136:137], s[26:27]
	s_delay_alu instid0(VALU_DEP_2) | instskip(NEXT) | instid1(VALU_DEP_2)
	v_add_f64 v[3:4], v[11:12], v[3:4]
	v_fma_f64 v[11:12], v[25:26], s[52:53], v[5:6]
	scratch_store_b64 off, v[5:6], off offset:108 ; 8-byte Folded Spill
	v_mul_f64 v[6:7], v[138:139], s[34:35]
	v_add_f64 v[1:2], v[11:12], v[1:2]
	v_fma_f64 v[11:12], v[31:32], s[26:27], v[79:80]
	s_delay_alu instid0(VALU_DEP_1) | instskip(SKIP_1) | instid1(VALU_DEP_1)
	v_add_f64 v[3:4], v[11:12], v[3:4]
	v_fma_f64 v[11:12], v[29:30], s[62:63], v[81:82]
	v_add_f64 v[1:2], v[11:12], v[1:2]
	v_fma_f64 v[11:12], v[33:34], s[18:19], v[83:84]
	s_delay_alu instid0(VALU_DEP_1) | instskip(SKIP_1) | instid1(VALU_DEP_1)
	v_add_f64 v[3:4], v[11:12], v[3:4]
	v_fma_f64 v[11:12], v[37:38], s[64:65], v[85:86]
	v_add_f64 v[63:64], v[11:12], v[1:2]
	v_fma_f64 v[11:12], v[69:70], s[12:13], v[87:88]
	v_mul_f64 v[0:1], v[170:171], s[54:55]
	s_delay_alu instid0(VALU_DEP_2) | instskip(SKIP_2) | instid1(VALU_DEP_2)
	v_add_f64 v[65:66], v[11:12], v[3:4]
	v_fma_f64 v[11:12], v[49:50], s[44:45], v[97:98]
	v_mul_f64 v[4:5], v[140:141], s[12:13]
	v_add_f64 v[9:10], v[11:12], v[9:10]
	v_fma_f64 v[11:12], v[47:48], s[36:37], v[99:100]
	s_delay_alu instid0(VALU_DEP_3) | instskip(SKIP_1) | instid1(VALU_DEP_4)
	v_fma_f64 v[2:3], v[35:36], s[64:65], v[4:5]
	v_fma_f64 v[4:5], v[35:36], s[34:35], v[4:5]
	v_add_f64 v[9:10], v[13:14], v[9:10]
	s_delay_alu instid0(VALU_DEP_4) | instskip(SKIP_2) | instid1(VALU_DEP_2)
	v_add_f64 v[11:12], v[11:12], v[19:20]
	v_fma_f64 v[13:14], v[43:44], s[26:27], v[103:104]
	v_fma_f64 v[19:20], v[47:48], s[12:13], v[217:218]
	v_add_f64 v[11:12], v[13:14], v[11:12]
	v_fma_f64 v[13:14], v[41:42], s[64:65], v[105:106]
	s_delay_alu instid0(VALU_DEP_3) | instskip(SKIP_1) | instid1(VALU_DEP_3)
	v_add_f64 v[19:20], v[19:20], v[187:188]
	v_fma_f64 v[187:188], v[45:46], s[58:59], v[249:250]
	v_add_f64 v[9:10], v[13:14], v[9:10]
	v_fma_f64 v[13:14], v[39:40], s[12:13], v[107:108]
	s_delay_alu instid0(VALU_DEP_1) | instskip(SKIP_1) | instid1(VALU_DEP_1)
	v_add_f64 v[11:12], v[13:14], v[11:12]
	v_fma_f64 v[13:14], v[35:36], s[38:39], v[109:110]
	v_add_f64 v[9:10], v[13:14], v[9:10]
	v_fma_f64 v[13:14], v[27:28], s[18:19], v[111:112]
	s_delay_alu instid0(VALU_DEP_1) | instskip(SKIP_1) | instid1(VALU_DEP_1)
	;; [unrolled: 5-line block ×4, first 2 shown]
	v_add_f64 v[11:12], v[13:14], v[11:12]
	v_fma_f64 v[13:14], v[37:38], s[54:55], v[122:123]
	v_add_f64 v[152:153], v[13:14], v[9:10]
	v_fma_f64 v[13:14], v[69:70], s[0:1], v[124:125]
	v_mul_f64 v[8:9], v[136:137], s[36:37]
	s_delay_alu instid0(VALU_DEP_2) | instskip(SKIP_2) | instid1(VALU_DEP_2)
	v_add_f64 v[154:155], v[13:14], v[11:12]
	v_fma_f64 v[13:14], v[49:50], s[52:53], v[142:143]
	v_mul_f64 v[10:11], v[134:135], s[44:45]
	v_add_f64 v[13:14], v[13:14], v[144:145]
	v_mul_f64 v[144:145], v[176:177], s[40:41]
	s_delay_alu instid0(VALU_DEP_1) | instskip(NEXT) | instid1(VALU_DEP_1)
	v_fma_f64 v[15:16], v[47:48], s[26:27], v[144:145]
	v_add_f64 v[15:16], v[15:16], v[148:149]
	v_mul_f64 v[148:149], v[172:173], s[12:13]
	s_delay_alu instid0(VALU_DEP_1) | instskip(NEXT) | instid1(VALU_DEP_1)
	v_fma_f64 v[17:18], v[45:46], s[34:35], v[148:149]
	v_add_f64 v[13:14], v[17:18], v[13:14]
	v_fma_f64 v[17:18], v[43:44], s[12:13], v[67:68]
	s_delay_alu instid0(VALU_DEP_1) | instskip(SKIP_1) | instid1(VALU_DEP_1)
	v_add_f64 v[15:16], v[17:18], v[15:16]
	v_fma_f64 v[17:18], v[41:42], s[42:43], v[71:72]
	v_add_f64 v[13:14], v[17:18], v[13:14]
	v_fma_f64 v[17:18], v[39:40], s[30:31], v[156:157]
	s_delay_alu instid0(VALU_DEP_1) | instskip(SKIP_1) | instid1(VALU_DEP_1)
	v_add_f64 v[15:16], v[17:18], v[15:16]
	;; [unrolled: 5-line block ×5, first 2 shown]
	v_fma_f64 v[17:18], v[37:38], s[62:63], v[174:175]
	v_add_f64 v[59:60], v[17:18], v[13:14]
	v_fma_f64 v[17:18], v[69:70], s[18:19], v[180:181]
	v_mul_f64 v[12:13], v[132:133], s[0:1]
	s_delay_alu instid0(VALU_DEP_2) | instskip(SKIP_1) | instid1(VALU_DEP_1)
	v_add_f64 v[61:62], v[17:18], v[15:16]
	v_fma_f64 v[17:18], v[49:50], s[64:65], v[215:216]
	v_add_f64 v[17:18], v[17:18], v[21:22]
	v_fma_f64 v[21:22], v[45:46], s[42:43], v[219:220]
	s_delay_alu instid0(VALU_DEP_1) | instskip(SKIP_1) | instid1(VALU_DEP_1)
	v_add_f64 v[17:18], v[21:22], v[17:18]
	v_fma_f64 v[21:22], v[43:44], s[30:31], v[221:222]
	v_add_f64 v[19:20], v[21:22], v[19:20]
	v_fma_f64 v[21:22], v[41:42], s[54:55], v[223:224]
	s_delay_alu instid0(VALU_DEP_1) | instskip(SKIP_1) | instid1(VALU_DEP_1)
	;; [unrolled: 5-line block ×5, first 2 shown]
	v_add_f64 v[17:18], v[21:22], v[17:18]
	v_fma_f64 v[21:22], v[33:34], s[26:27], v[237:238]
	v_add_f64 v[19:20], v[21:22], v[19:20]
	v_fma_f64 v[21:22], v[37:38], s[58:59], v[241:242]
	s_delay_alu instid0(VALU_DEP_1) | instskip(SKIP_2) | instid1(VALU_DEP_2)
	v_add_f64 v[55:56], v[21:22], v[17:18]
	v_fma_f64 v[21:22], v[69:70], s[14:15], v[243:244]
	v_mul_f64 v[16:17], v[128:129], s[26:27]
	v_add_f64 v[57:58], v[21:22], v[19:20]
	v_fma_f64 v[21:22], v[49:50], s[38:39], v[245:246]
	s_delay_alu instid0(VALU_DEP_3) | instskip(NEXT) | instid1(VALU_DEP_2)
	v_fma_f64 v[18:19], v[37:38], s[52:53], v[16:17]
	v_add_f64 v[21:22], v[21:22], v[23:24]
	v_fma_f64 v[23:24], v[47:48], s[18:19], v[247:248]
	s_delay_alu instid0(VALU_DEP_2) | instskip(NEXT) | instid1(VALU_DEP_2)
	v_add_f64 v[21:22], v[187:188], v[21:22]
	v_add_f64 v[23:24], v[23:24], v[189:190]
	v_fma_f64 v[187:188], v[43:44], s[14:15], v[251:252]
	s_delay_alu instid0(VALU_DEP_1) | instskip(SKIP_1) | instid1(VALU_DEP_1)
	v_add_f64 v[23:24], v[187:188], v[23:24]
	v_fma_f64 v[187:188], v[41:42], s[28:29], v[253:254]
	v_add_f64 v[21:22], v[187:188], v[21:22]
	v_fma_f64 v[187:188], v[39:40], s[24:25], v[239:240]
	s_delay_alu instid0(VALU_DEP_2) | instskip(NEXT) | instid1(VALU_DEP_2)
	v_add_f64 v[2:3], v[2:3], v[21:22]
	v_add_f64 v[23:24], v[187:188], v[23:24]
	v_fma_f64 v[21:22], v[27:28], s[12:13], v[6:7]
	s_delay_alu instid0(VALU_DEP_1) | instskip(SKIP_1) | instid1(VALU_DEP_1)
	v_add_f64 v[21:22], v[21:22], v[23:24]
	v_fma_f64 v[23:24], v[25:26], s[50:51], v[8:9]
	v_add_f64 v[2:3], v[23:24], v[2:3]
	v_fma_f64 v[23:24], v[31:32], s[36:37], v[10:11]
	s_delay_alu instid0(VALU_DEP_1) | instskip(SKIP_1) | instid1(VALU_DEP_1)
	v_add_f64 v[21:22], v[23:24], v[21:22]
	v_fma_f64 v[23:24], v[29:30], s[10:11], v[12:13]
	v_add_f64 v[2:3], v[23:24], v[2:3]
	v_mul_f64 v[23:24], v[130:131], s[54:55]
	s_delay_alu instid0(VALU_DEP_2) | instskip(NEXT) | instid1(VALU_DEP_2)
	v_add_f64 v[51:52], v[18:19], v[2:3]
	v_fma_f64 v[14:15], v[33:34], s[0:1], v[23:24]
	v_mul_f64 v[2:3], v[126:127], s[40:41]
	s_delay_alu instid0(VALU_DEP_2) | instskip(NEXT) | instid1(VALU_DEP_2)
	v_add_f64 v[14:15], v[14:15], v[21:22]
	v_fma_f64 v[18:19], v[69:70], s[26:27], v[2:3]
	v_fma_f64 v[20:21], v[43:44], s[0:1], v[0:1]
	v_fma_f64 v[0:1], v[43:44], s[0:1], -v[0:1]
	v_fma_f64 v[2:3], v[69:70], s[26:27], -v[2:3]
	s_delay_alu instid0(VALU_DEP_4) | instskip(SKIP_1) | instid1(VALU_DEP_1)
	v_add_f64 v[53:54], v[18:19], v[14:15]
	v_mul_f64 v[14:15], v[178:179], s[30:31]
	v_fma_f64 v[18:19], v[49:50], s[42:43], v[14:15]
	v_fma_f64 v[14:15], v[49:50], s[56:57], v[14:15]
	s_delay_alu instid0(VALU_DEP_2) | instskip(SKIP_1) | instid1(VALU_DEP_3)
	v_add_f64 v[18:19], v[18:19], v[191:192]
	v_mul_f64 v[191:192], v[176:177], s[56:57]
	v_add_f64 v[14:15], v[14:15], v[195:196]
	s_delay_alu instid0(VALU_DEP_2) | instskip(NEXT) | instid1(VALU_DEP_1)
	v_fma_f64 v[187:188], v[47:48], s[30:31], v[191:192]
	v_add_f64 v[187:188], v[187:188], v[193:194]
	v_mul_f64 v[193:194], v[172:173], s[0:1]
	s_delay_alu instid0(VALU_DEP_2) | instskip(NEXT) | instid1(VALU_DEP_2)
	v_add_f64 v[20:21], v[20:21], v[187:188]
	v_fma_f64 v[189:190], v[45:46], s[10:11], v[193:194]
	v_mul_f64 v[186:187], v[150:151], s[18:19]
	s_delay_alu instid0(VALU_DEP_2) | instskip(NEXT) | instid1(VALU_DEP_2)
	v_add_f64 v[18:19], v[189:190], v[18:19]
	v_fma_f64 v[188:189], v[41:42], s[62:63], v[186:187]
	s_delay_alu instid0(VALU_DEP_1) | instskip(SKIP_1) | instid1(VALU_DEP_1)
	v_add_f64 v[18:19], v[188:189], v[18:19]
	v_mul_f64 v[188:189], v[146:147], s[38:39]
	v_fma_f64 v[95:96], v[39:40], s[18:19], v[188:189]
	s_delay_alu instid0(VALU_DEP_1) | instskip(SKIP_1) | instid1(VALU_DEP_1)
	v_add_f64 v[20:21], v[95:96], v[20:21]
	v_mul_f64 v[95:96], v[140:141], s[36:37]
	;; [unrolled: 4-line block ×7, first 2 shown]
	v_fma_f64 v[211:212], v[33:34], s[12:13], v[73:74]
	v_fma_f64 v[73:74], v[33:34], s[12:13], -v[73:74]
	s_delay_alu instid0(VALU_DEP_2) | instskip(SKIP_1) | instid1(VALU_DEP_1)
	v_add_f64 v[20:21], v[211:212], v[20:21]
	v_mul_f64 v[211:212], v[128:129], s[24:25]
	v_fma_f64 v[75:76], v[37:38], s[60:61], v[211:212]
	s_delay_alu instid0(VALU_DEP_1) | instskip(SKIP_1) | instid1(VALU_DEP_1)
	v_add_f64 v[18:19], v[75:76], v[18:19]
	v_mul_f64 v[75:76], v[126:127], s[28:29]
	v_fma_f64 v[77:78], v[69:70], s[24:25], v[75:76]
	v_fma_f64 v[75:76], v[69:70], s[24:25], -v[75:76]
	s_delay_alu instid0(VALU_DEP_2) | instskip(SKIP_2) | instid1(VALU_DEP_2)
	v_add_f64 v[20:21], v[77:78], v[20:21]
	v_fma_f64 v[77:78], v[47:48], s[30:31], -v[191:192]
	v_fma_f64 v[190:191], v[45:46], s[54:55], v[193:194]
	v_add_f64 v[77:78], v[77:78], v[197:198]
	s_delay_alu instid0(VALU_DEP_2) | instskip(NEXT) | instid1(VALU_DEP_2)
	v_add_f64 v[14:15], v[190:191], v[14:15]
	v_add_f64 v[0:1], v[0:1], v[77:78]
	v_fma_f64 v[77:78], v[41:42], s[38:39], v[186:187]
	s_delay_alu instid0(VALU_DEP_1) | instskip(SKIP_1) | instid1(VALU_DEP_1)
	v_add_f64 v[14:15], v[77:78], v[14:15]
	v_fma_f64 v[77:78], v[39:40], s[18:19], -v[188:189]
	v_add_f64 v[0:1], v[77:78], v[0:1]
	v_fma_f64 v[77:78], v[35:36], s[44:45], v[95:96]
	s_delay_alu instid0(VALU_DEP_1) | instskip(SKIP_1) | instid1(VALU_DEP_1)
	v_add_f64 v[14:15], v[77:78], v[14:15]
	v_fma_f64 v[77:78], v[27:28], s[36:37], -v[93:94]
	v_add_f64 v[0:1], v[77:78], v[0:1]
	v_fma_f64 v[77:78], v[25:26], s[58:59], v[91:92]
	s_delay_alu instid0(VALU_DEP_1) | instskip(SKIP_2) | instid1(VALU_DEP_2)
	v_add_f64 v[14:15], v[77:78], v[14:15]
	v_fma_f64 v[77:78], v[31:32], s[14:15], -v[213:214]
	v_mul_f64 v[213:214], v[128:129], s[30:31]
	v_add_f64 v[0:1], v[77:78], v[0:1]
	v_fma_f64 v[77:78], v[29:30], s[34:35], v[89:90]
	s_delay_alu instid0(VALU_DEP_2) | instskip(NEXT) | instid1(VALU_DEP_2)
	v_add_f64 v[0:1], v[73:74], v[0:1]
	v_add_f64 v[14:15], v[77:78], v[14:15]
	v_fma_f64 v[73:74], v[37:38], s[28:29], v[211:212]
	v_mul_f64 v[77:78], v[172:173], s[36:37]
	v_mul_f64 v[211:212], v[130:131], s[16:17]
	;; [unrolled: 1-line block ×3, first 2 shown]
	v_add_f64 v[193:194], v[75:76], v[0:1]
	v_mul_f64 v[0:1], v[178:179], s[24:25]
	v_add_f64 v[191:192], v[73:74], v[14:15]
	v_mul_f64 v[73:74], v[176:177], s[28:29]
	v_fma_f64 v[89:90], v[45:46], s[44:45], v[77:78]
	s_delay_alu instid0(VALU_DEP_4) | instskip(SKIP_1) | instid1(VALU_DEP_4)
	v_fma_f64 v[14:15], v[49:50], s[60:61], v[0:1]
	v_fma_f64 v[0:1], v[49:50], s[28:29], v[0:1]
	;; [unrolled: 1-line block ×3, first 2 shown]
	v_fma_f64 v[73:74], v[47:48], s[24:25], -v[73:74]
	s_delay_alu instid0(VALU_DEP_4) | instskip(SKIP_1) | instid1(VALU_DEP_4)
	v_add_f64 v[14:15], v[14:15], v[199:200]
	v_mul_f64 v[199:200], v[134:135], s[34:35]
	v_add_f64 v[75:76], v[75:76], v[201:202]
	v_mul_f64 v[201:202], v[132:133], s[14:15]
	v_add_f64 v[0:1], v[0:1], v[203:204]
	v_add_f64 v[73:74], v[73:74], v[205:206]
	v_mul_f64 v[134:135], v[134:135], s[28:29]
	v_mul_f64 v[132:133], v[132:133], s[30:31]
	v_add_f64 v[14:15], v[89:90], v[14:15]
	v_mul_f64 v[89:90], v[170:171], s[50:51]
	s_delay_alu instid0(VALU_DEP_1) | instskip(NEXT) | instid1(VALU_DEP_1)
	v_fma_f64 v[91:92], v[43:44], s[36:37], v[89:90]
	v_add_f64 v[75:76], v[91:92], v[75:76]
	v_mul_f64 v[91:92], v[150:151], s[26:27]
	s_delay_alu instid0(VALU_DEP_1) | instskip(NEXT) | instid1(VALU_DEP_1)
	v_fma_f64 v[93:94], v[41:42], s[40:41], v[91:92]
	v_add_f64 v[14:15], v[93:94], v[14:15]
	v_mul_f64 v[93:94], v[146:147], s[52:53]
	s_delay_alu instid0(VALU_DEP_1) | instskip(NEXT) | instid1(VALU_DEP_1)
	v_fma_f64 v[95:96], v[39:40], s[26:27], v[93:94]
	v_add_f64 v[75:76], v[95:96], v[75:76]
	v_mul_f64 v[95:96], v[140:141], s[0:1]
	s_delay_alu instid0(VALU_DEP_1) | instskip(NEXT) | instid1(VALU_DEP_1)
	v_fma_f64 v[186:187], v[35:36], s[10:11], v[95:96]
	v_add_f64 v[14:15], v[186:187], v[14:15]
	v_mul_f64 v[186:187], v[138:139], s[54:55]
	v_mul_f64 v[138:139], v[138:139], s[40:41]
	s_delay_alu instid0(VALU_DEP_2) | instskip(NEXT) | instid1(VALU_DEP_1)
	v_fma_f64 v[188:189], v[27:28], s[0:1], v[186:187]
	v_add_f64 v[75:76], v[188:189], v[75:76]
	v_mul_f64 v[188:189], v[136:137], s[12:13]
	v_mul_f64 v[136:137], v[136:137], s[24:25]
	s_delay_alu instid0(VALU_DEP_2) | instskip(NEXT) | instid1(VALU_DEP_1)
	v_fma_f64 v[195:196], v[25:26], s[64:65], v[188:189]
	v_add_f64 v[14:15], v[195:196], v[14:15]
	v_fma_f64 v[195:196], v[31:32], s[12:13], v[199:200]
	s_delay_alu instid0(VALU_DEP_1) | instskip(SKIP_1) | instid1(VALU_DEP_1)
	v_add_f64 v[75:76], v[195:196], v[75:76]
	v_fma_f64 v[195:196], v[29:30], s[58:59], v[201:202]
	v_add_f64 v[14:15], v[195:196], v[14:15]
	v_fma_f64 v[195:196], v[33:34], s[14:15], v[211:212]
	s_delay_alu instid0(VALU_DEP_1) | instskip(SKIP_1) | instid1(VALU_DEP_1)
	v_add_f64 v[75:76], v[195:196], v[75:76]
	v_fma_f64 v[195:196], v[37:38], s[56:57], v[213:214]
	v_add_f64 v[195:196], v[195:196], v[14:15]
	v_mul_f64 v[14:15], v[126:127], s[42:43]
	s_delay_alu instid0(VALU_DEP_1) | instskip(SKIP_1) | instid1(VALU_DEP_2)
	v_fma_f64 v[197:198], v[69:70], s[30:31], v[14:15]
	v_fma_f64 v[14:15], v[69:70], s[30:31], -v[14:15]
	v_add_f64 v[197:198], v[197:198], v[75:76]
	v_fma_f64 v[75:76], v[45:46], s[50:51], v[77:78]
	v_mul_f64 v[77:78], v[172:173], s[18:19]
	s_delay_alu instid0(VALU_DEP_2) | instskip(SKIP_1) | instid1(VALU_DEP_3)
	v_add_f64 v[0:1], v[75:76], v[0:1]
	v_fma_f64 v[75:76], v[43:44], s[36:37], -v[89:90]
	v_fma_f64 v[89:90], v[45:46], s[62:63], v[77:78]
	s_delay_alu instid0(VALU_DEP_2) | instskip(SKIP_1) | instid1(VALU_DEP_1)
	v_add_f64 v[73:74], v[75:76], v[73:74]
	v_fma_f64 v[75:76], v[41:42], s[52:53], v[91:92]
	v_add_f64 v[0:1], v[75:76], v[0:1]
	v_fma_f64 v[75:76], v[39:40], s[26:27], -v[93:94]
	s_delay_alu instid0(VALU_DEP_1) | instskip(SKIP_1) | instid1(VALU_DEP_1)
	v_add_f64 v[73:74], v[75:76], v[73:74]
	v_fma_f64 v[75:76], v[35:36], s[54:55], v[95:96]
	v_add_f64 v[0:1], v[75:76], v[0:1]
	v_fma_f64 v[75:76], v[27:28], s[0:1], -v[186:187]
	s_delay_alu instid0(VALU_DEP_1) | instskip(SKIP_1) | instid1(VALU_DEP_1)
	;; [unrolled: 5-line block ×3, first 2 shown]
	v_add_f64 v[73:74], v[75:76], v[73:74]
	v_fma_f64 v[75:76], v[29:30], s[16:17], v[201:202]
	v_add_f64 v[0:1], v[75:76], v[0:1]
	v_fma_f64 v[75:76], v[33:34], s[14:15], -v[211:212]
	s_delay_alu instid0(VALU_DEP_1) | instskip(SKIP_1) | instid1(VALU_DEP_2)
	v_add_f64 v[73:74], v[75:76], v[73:74]
	v_fma_f64 v[75:76], v[37:38], s[42:43], v[213:214]
	v_add_f64 v[201:202], v[14:15], v[73:74]
	s_delay_alu instid0(VALU_DEP_2) | instskip(SKIP_2) | instid1(VALU_DEP_2)
	v_add_f64 v[199:200], v[75:76], v[0:1]
	v_mul_f64 v[0:1], v[178:179], s[0:1]
	v_mul_f64 v[73:74], v[176:177], s[10:11]
	v_fma_f64 v[14:15], v[49:50], s[54:55], v[0:1]
	s_delay_alu instid0(VALU_DEP_2) | instskip(SKIP_1) | instid1(VALU_DEP_3)
	v_fma_f64 v[75:76], v[47:48], s[0:1], v[73:74]
	v_fma_f64 v[0:1], v[49:50], s[10:11], v[0:1]
	v_add_f64 v[14:15], v[14:15], v[207:208]
	s_delay_alu instid0(VALU_DEP_3) | instskip(NEXT) | instid1(VALU_DEP_2)
	v_add_f64 v[75:76], v[75:76], v[209:210]
	v_add_f64 v[14:15], v[89:90], v[14:15]
	v_mul_f64 v[89:90], v[170:171], s[38:39]
	s_delay_alu instid0(VALU_DEP_1) | instskip(NEXT) | instid1(VALU_DEP_1)
	v_fma_f64 v[91:92], v[43:44], s[18:19], v[89:90]
	v_add_f64 v[75:76], v[91:92], v[75:76]
	v_mul_f64 v[91:92], v[150:151], s[14:15]
	s_delay_alu instid0(VALU_DEP_1) | instskip(NEXT) | instid1(VALU_DEP_1)
	v_fma_f64 v[93:94], v[41:42], s[58:59], v[91:92]
	v_add_f64 v[14:15], v[93:94], v[14:15]
	v_mul_f64 v[93:94], v[146:147], s[16:17]
	v_mul_f64 v[146:147], v[126:127], s[44:45]
	s_delay_alu instid0(VALU_DEP_2) | instskip(NEXT) | instid1(VALU_DEP_1)
	v_fma_f64 v[95:96], v[39:40], s[14:15], v[93:94]
	v_add_f64 v[75:76], v[95:96], v[75:76]
	v_mul_f64 v[95:96], v[140:141], s[26:27]
	s_delay_alu instid0(VALU_DEP_1) | instskip(NEXT) | instid1(VALU_DEP_1)
	v_fma_f64 v[140:141], v[35:36], s[52:53], v[95:96]
	v_add_f64 v[14:15], v[140:141], v[14:15]
	v_fma_f64 v[140:141], v[27:28], s[26:27], v[138:139]
	s_delay_alu instid0(VALU_DEP_1) | instskip(SKIP_1) | instid1(VALU_DEP_1)
	v_add_f64 v[75:76], v[140:141], v[75:76]
	v_fma_f64 v[140:141], v[25:26], s[60:61], v[136:137]
	v_add_f64 v[14:15], v[140:141], v[14:15]
	v_fma_f64 v[140:141], v[31:32], s[24:25], v[134:135]
	s_delay_alu instid0(VALU_DEP_1) | instskip(SKIP_1) | instid1(VALU_DEP_1)
	v_add_f64 v[75:76], v[140:141], v[75:76]
	;; [unrolled: 5-line block ×3, first 2 shown]
	v_mul_f64 v[140:141], v[128:129], s[36:37]
	v_fma_f64 v[126:127], v[37:38], s[50:51], v[140:141]
	s_delay_alu instid0(VALU_DEP_1) | instskip(SKIP_1) | instid1(VALU_DEP_1)
	v_add_f64 v[126:127], v[126:127], v[14:15]
	v_fma_f64 v[14:15], v[69:70], s[36:37], v[146:147]
	v_add_f64 v[128:129], v[14:15], v[75:76]
	scratch_load_b64 v[14:15], off, off offset:172 ; 8-byte Folded Reload
	v_fma_f64 v[75:76], v[69:70], s[36:37], -v[146:147]
	s_waitcnt vmcnt(0)
	v_add_f64 v[0:1], v[0:1], v[14:15]
	v_fma_f64 v[14:15], v[47:48], s[0:1], -v[73:74]
	scratch_load_b64 v[73:74], off, off offset:164 ; 8-byte Folded Reload
	s_waitcnt vmcnt(0)
	v_add_f64 v[14:15], v[14:15], v[73:74]
	v_fma_f64 v[73:74], v[45:46], s[38:39], v[77:78]
	s_delay_alu instid0(VALU_DEP_1) | instskip(SKIP_1) | instid1(VALU_DEP_1)
	v_add_f64 v[0:1], v[73:74], v[0:1]
	v_fma_f64 v[73:74], v[43:44], s[18:19], -v[89:90]
	v_add_f64 v[14:15], v[73:74], v[14:15]
	v_fma_f64 v[73:74], v[41:42], s[16:17], v[91:92]
	s_delay_alu instid0(VALU_DEP_1) | instskip(SKIP_1) | instid1(VALU_DEP_1)
	v_add_f64 v[0:1], v[73:74], v[0:1]
	v_fma_f64 v[73:74], v[39:40], s[14:15], -v[93:94]
	;; [unrolled: 5-line block ×5, first 2 shown]
	v_add_f64 v[14:15], v[73:74], v[14:15]
	v_fma_f64 v[73:74], v[37:38], s[44:45], v[140:141]
	s_delay_alu instid0(VALU_DEP_2)
	v_add_f64 v[132:133], v[75:76], v[14:15]
	scratch_load_b64 v[14:15], off, off offset:156 ; 8-byte Folded Reload
	v_add_f64 v[130:131], v[73:74], v[0:1]
	scratch_load_b64 v[73:74], off, off offset:148 ; 8-byte Folded Reload
	v_fma_f64 v[0:1], v[49:50], s[62:63], v[245:246]
	s_waitcnt vmcnt(1)
	s_delay_alu instid0(VALU_DEP_1) | instskip(SKIP_2) | instid1(VALU_DEP_1)
	v_add_f64 v[0:1], v[0:1], v[14:15]
	v_fma_f64 v[14:15], v[47:48], s[18:19], -v[247:248]
	s_waitcnt vmcnt(0)
	v_add_f64 v[14:15], v[14:15], v[73:74]
	v_fma_f64 v[73:74], v[45:46], s[16:17], v[249:250]
	s_delay_alu instid0(VALU_DEP_1) | instskip(SKIP_1) | instid1(VALU_DEP_1)
	v_add_f64 v[0:1], v[73:74], v[0:1]
	v_fma_f64 v[73:74], v[43:44], s[14:15], -v[251:252]
	v_add_f64 v[14:15], v[73:74], v[14:15]
	v_fma_f64 v[73:74], v[41:42], s[60:61], v[253:254]
	s_delay_alu instid0(VALU_DEP_1) | instskip(SKIP_1) | instid1(VALU_DEP_2)
	v_add_f64 v[0:1], v[73:74], v[0:1]
	v_fma_f64 v[73:74], v[39:40], s[24:25], -v[239:240]
	v_add_f64 v[0:1], v[4:5], v[0:1]
	s_delay_alu instid0(VALU_DEP_2) | instskip(SKIP_2) | instid1(VALU_DEP_2)
	v_add_f64 v[14:15], v[73:74], v[14:15]
	v_fma_f64 v[4:5], v[27:28], s[12:13], -v[6:7]
	v_fma_f64 v[6:7], v[25:26], s[44:45], v[8:9]
	v_add_f64 v[4:5], v[4:5], v[14:15]
	s_delay_alu instid0(VALU_DEP_2) | instskip(SKIP_1) | instid1(VALU_DEP_1)
	v_add_f64 v[0:1], v[6:7], v[0:1]
	v_fma_f64 v[6:7], v[31:32], s[36:37], -v[10:11]
	v_add_f64 v[4:5], v[6:7], v[4:5]
	v_fma_f64 v[6:7], v[29:30], s[54:55], v[12:13]
	s_delay_alu instid0(VALU_DEP_1) | instskip(SKIP_1) | instid1(VALU_DEP_1)
	v_add_f64 v[0:1], v[6:7], v[0:1]
	v_fma_f64 v[6:7], v[33:34], s[0:1], -v[23:24]
	v_add_f64 v[4:5], v[6:7], v[4:5]
	v_fma_f64 v[6:7], v[37:38], s[40:41], v[16:17]
	s_delay_alu instid0(VALU_DEP_2)
	v_add_f64 v[136:137], v[2:3], v[4:5]
	s_clause 0x1
	scratch_load_b64 v[2:3], off, off offset:140
	scratch_load_b64 v[4:5], off, off offset:132
	v_add_f64 v[134:135], v[6:7], v[0:1]
	v_fma_f64 v[0:1], v[49:50], s[34:35], v[215:216]
	v_fma_f64 v[6:7], v[69:70], s[14:15], -v[243:244]
	s_waitcnt vmcnt(1)
	s_delay_alu instid0(VALU_DEP_2) | instskip(SKIP_2) | instid1(VALU_DEP_1)
	v_add_f64 v[0:1], v[0:1], v[2:3]
	v_fma_f64 v[2:3], v[47:48], s[12:13], -v[217:218]
	s_waitcnt vmcnt(0)
	v_add_f64 v[2:3], v[2:3], v[4:5]
	v_fma_f64 v[4:5], v[45:46], s[56:57], v[219:220]
	s_delay_alu instid0(VALU_DEP_1) | instskip(SKIP_1) | instid1(VALU_DEP_1)
	v_add_f64 v[0:1], v[4:5], v[0:1]
	v_fma_f64 v[4:5], v[43:44], s[30:31], -v[221:222]
	v_add_f64 v[2:3], v[4:5], v[2:3]
	v_fma_f64 v[4:5], v[41:42], s[10:11], v[223:224]
	s_delay_alu instid0(VALU_DEP_1) | instskip(SKIP_1) | instid1(VALU_DEP_1)
	v_add_f64 v[0:1], v[4:5], v[0:1]
	v_fma_f64 v[4:5], v[39:40], s[0:1], -v[225:226]
	;; [unrolled: 5-line block ×5, first 2 shown]
	v_add_f64 v[2:3], v[4:5], v[2:3]
	v_fma_f64 v[4:5], v[37:38], s[16:17], v[241:242]
	s_delay_alu instid0(VALU_DEP_2)
	v_add_f64 v[95:96], v[6:7], v[2:3]
	scratch_load_b64 v[2:3], off, off offset:124 ; 8-byte Folded Reload
	v_add_f64 v[93:94], v[4:5], v[0:1]
	scratch_load_b64 v[4:5], off, off offset:116 ; 8-byte Folded Reload
	v_fma_f64 v[0:1], v[49:50], s[40:41], v[142:143]
	v_fma_f64 v[6:7], v[69:70], s[18:19], -v[180:181]
	s_waitcnt vmcnt(1)
	s_delay_alu instid0(VALU_DEP_2) | instskip(SKIP_2) | instid1(VALU_DEP_1)
	v_add_f64 v[0:1], v[0:1], v[2:3]
	v_fma_f64 v[2:3], v[47:48], s[26:27], -v[144:145]
	s_waitcnt vmcnt(0)
	v_add_f64 v[2:3], v[2:3], v[4:5]
	v_fma_f64 v[4:5], v[45:46], s[64:65], v[148:149]
	s_delay_alu instid0(VALU_DEP_1) | instskip(SKIP_1) | instid1(VALU_DEP_1)
	v_add_f64 v[0:1], v[4:5], v[0:1]
	v_fma_f64 v[4:5], v[43:44], s[12:13], -v[67:68]
	v_add_f64 v[2:3], v[4:5], v[2:3]
	v_fma_f64 v[4:5], v[41:42], s[56:57], v[71:72]
	s_delay_alu instid0(VALU_DEP_1) | instskip(SKIP_1) | instid1(VALU_DEP_1)
	v_add_f64 v[0:1], v[4:5], v[0:1]
	v_fma_f64 v[4:5], v[39:40], s[30:31], -v[156:157]
	;; [unrolled: 5-line block ×5, first 2 shown]
	v_add_f64 v[2:3], v[4:5], v[2:3]
	v_fma_f64 v[4:5], v[37:38], s[38:39], v[174:175]
	s_delay_alu instid0(VALU_DEP_2)
	v_add_f64 v[91:92], v[6:7], v[2:3]
	scratch_load_b64 v[2:3], off, off offset:36 ; 8-byte Folded Reload
	v_add_f64 v[89:90], v[4:5], v[0:1]
	scratch_load_b64 v[4:5], off, off offset:28 ; 8-byte Folded Reload
	v_fma_f64 v[0:1], v[49:50], s[50:51], v[97:98]
	v_fma_f64 v[6:7], v[69:70], s[0:1], -v[124:125]
	s_waitcnt vmcnt(1)
	s_delay_alu instid0(VALU_DEP_2) | instskip(SKIP_2) | instid1(VALU_DEP_1)
	v_add_f64 v[0:1], v[0:1], v[2:3]
	v_fma_f64 v[2:3], v[47:48], s[36:37], -v[99:100]
	s_waitcnt vmcnt(0)
	v_add_f64 v[2:3], v[2:3], v[4:5]
	v_fma_f64 v[4:5], v[45:46], s[40:41], v[101:102]
	s_delay_alu instid0(VALU_DEP_1) | instskip(SKIP_1) | instid1(VALU_DEP_1)
	v_add_f64 v[0:1], v[4:5], v[0:1]
	v_fma_f64 v[4:5], v[43:44], s[26:27], -v[103:104]
	v_add_f64 v[2:3], v[4:5], v[2:3]
	v_fma_f64 v[4:5], v[41:42], s[34:35], v[105:106]
	s_delay_alu instid0(VALU_DEP_1) | instskip(SKIP_1) | instid1(VALU_DEP_1)
	v_add_f64 v[0:1], v[4:5], v[0:1]
	v_fma_f64 v[4:5], v[39:40], s[12:13], -v[107:108]
	;; [unrolled: 5-line block ×5, first 2 shown]
	v_add_f64 v[2:3], v[4:5], v[2:3]
	v_fma_f64 v[4:5], v[37:38], s[10:11], v[122:123]
	s_delay_alu instid0(VALU_DEP_2) | instskip(NEXT) | instid1(VALU_DEP_2)
	v_add_f64 v[99:100], v[6:7], v[2:3]
	v_add_f64 v[97:98], v[4:5], v[0:1]
	s_clause 0x3
	scratch_load_b64 v[0:1], off, off offset:44
	scratch_load_b64 v[4:5], off, off offset:4
	;; [unrolled: 1-line block ×4, first 2 shown]
	s_waitcnt vmcnt(3)
	v_fma_f64 v[0:1], v[49:50], s[58:59], v[0:1]
	s_waitcnt vmcnt(2)
	s_delay_alu instid0(VALU_DEP_1) | instskip(SKIP_4) | instid1(VALU_DEP_1)
	v_add_f64 v[0:1], v[0:1], v[4:5]
	scratch_load_b64 v[4:5], off, off offset:20 ; 8-byte Folded Reload
	s_waitcnt vmcnt(2)
	v_fma_f64 v[2:3], v[47:48], s[14:15], -v[2:3]
	s_waitcnt vmcnt(0)
	v_add_f64 v[2:3], v[2:3], v[4:5]
	scratch_load_b64 v[4:5], off, off offset:60 ; 8-byte Folded Reload
	s_waitcnt vmcnt(0)
	v_fma_f64 v[4:5], v[45:46], s[60:61], v[4:5]
	s_delay_alu instid0(VALU_DEP_1) | instskip(SKIP_3) | instid1(VALU_DEP_1)
	v_add_f64 v[0:1], v[4:5], v[0:1]
	scratch_load_b64 v[4:5], off, off offset:76 ; 8-byte Folded Reload
	s_waitcnt vmcnt(0)
	v_fma_f64 v[4:5], v[41:42], s[50:51], v[4:5]
	v_add_f64 v[0:1], v[4:5], v[0:1]
	scratch_load_b64 v[4:5], off, off offset:92 ; 8-byte Folded Reload
	s_waitcnt vmcnt(0)
	v_fma_f64 v[4:5], v[35:36], s[42:43], v[4:5]
	s_delay_alu instid0(VALU_DEP_1) | instskip(SKIP_3) | instid1(VALU_DEP_1)
	v_add_f64 v[0:1], v[4:5], v[0:1]
	scratch_load_b64 v[4:5], off, off offset:108 ; 8-byte Folded Reload
	s_waitcnt vmcnt(0)
	v_fma_f64 v[4:5], v[25:26], s[40:41], v[4:5]
	v_add_f64 v[0:1], v[4:5], v[0:1]
	v_fma_f64 v[4:5], v[29:30], s[38:39], v[81:82]
	s_delay_alu instid0(VALU_DEP_1) | instskip(SKIP_1) | instid1(VALU_DEP_1)
	v_add_f64 v[0:1], v[4:5], v[0:1]
	v_fma_f64 v[4:5], v[37:38], s[34:35], v[85:86]
	v_add_f64 v[25:26], v[4:5], v[0:1]
	scratch_load_b32 v1, off, off           ; 4-byte Folded Reload
	v_fma_f64 v[6:7], v[43:44], s[24:25], -v[6:7]
	v_mul_u32_u24_e32 v0, 0x770, v255
	s_delay_alu instid0(VALU_DEP_2) | instskip(SKIP_3) | instid1(VALU_DEP_1)
	v_add_f64 v[2:3], v[6:7], v[2:3]
	scratch_load_b64 v[6:7], off, off offset:84 ; 8-byte Folded Reload
	s_waitcnt vmcnt(1)
	v_lshlrev_b32_e32 v114, 4, v1
	v_add3_u32 v0, 0, v0, v114
	s_waitcnt vmcnt(0)
	v_fma_f64 v[6:7], v[39:40], s[36:37], -v[6:7]
	s_delay_alu instid0(VALU_DEP_1)
	v_add_f64 v[2:3], v[6:7], v[2:3]
	scratch_load_b64 v[6:7], off, off offset:100 ; 8-byte Folded Reload
	ds_store_b128 v0, v[182:185]
	ds_store_b128 v0, v[63:66] offset:112
	ds_store_b128 v0, v[152:155] offset:224
	;; [unrolled: 1-line block ×6, first 2 shown]
	s_load_b64 s[46:47], s[46:47], 0x0
	s_waitcnt vmcnt(0)
	v_fma_f64 v[6:7], v[27:28], s[30:31], -v[6:7]
	s_delay_alu instid0(VALU_DEP_1) | instskip(SKIP_1) | instid1(VALU_DEP_1)
	v_add_f64 v[2:3], v[6:7], v[2:3]
	v_fma_f64 v[6:7], v[31:32], s[26:27], -v[79:80]
	v_add_f64 v[2:3], v[6:7], v[2:3]
	v_fma_f64 v[6:7], v[33:34], s[18:19], -v[83:84]
	s_delay_alu instid0(VALU_DEP_1) | instskip(SKIP_1) | instid1(VALU_DEP_1)
	v_add_f64 v[2:3], v[6:7], v[2:3]
	v_fma_f64 v[6:7], v[69:70], s[12:13], -v[87:88]
	v_add_f64 v[27:28], v[6:7], v[2:3]
	ds_store_b128 v0, v[195:198] offset:784
	ds_store_b128 v0, v[126:129] offset:896
	;; [unrolled: 1-line block ×10, first 2 shown]
	s_waitcnt lgkmcnt(0)
	s_waitcnt_vscnt null, 0x0
	s_barrier
	buffer_gl0_inv
	s_and_saveexec_b32 s33, s23
	s_cbranch_execz .LBB0_48
; %bb.47:
	v_mul_lo_u16 v0, v255, 31
	s_movk_i32 s23, 0xff0
	s_delay_alu instid0(VALU_DEP_1) | instskip(NEXT) | instid1(VALU_DEP_1)
	v_lshrrev_b16 v0, 9, v0
	v_mul_lo_u16 v0, v0, 17
	s_delay_alu instid0(VALU_DEP_1) | instskip(NEXT) | instid1(VALU_DEP_1)
	v_sub_nc_u16 v0, v255, v0
	v_and_b32_e32 v5, 0xff, v0
	s_delay_alu instid0(VALU_DEP_1)
	v_dual_mov_b32 v7, v5 :: v_dual_lshlrev_b32 v0, 8, v5
	s_clause 0x9
	global_load_b128 v[69:72], v0, s[48:49] offset:64
	global_load_b128 v[77:80], v0, s[48:49] offset:176
	;; [unrolled: 1-line block ×6, first 2 shown]
	global_load_b128 v[89:92], v0, s[48:49]
	global_load_b128 v[93:96], v0, s[48:49] offset:240
	global_load_b128 v[9:12], v0, s[48:49] offset:80
	;; [unrolled: 1-line block ×3, first 2 shown]
	scratch_store_b32 off, v7, off offset:192 ; 4-byte Folded Spill
	s_clause 0x4
	global_load_b128 v[85:88], v0, s[48:49] offset:112
	global_load_b128 v[73:76], v0, s[48:49] offset:96
	;; [unrolled: 1-line block ×5, first 2 shown]
	v_add_nc_u32_e32 v5, 0x110, v7
	v_add_nc_u32_e32 v6, 0xff, v7
	;; [unrolled: 1-line block ×6, first 2 shown]
	v_mul_lo_u32 v21, v113, v5
	v_mul_lo_u32 v22, v113, v6
	global_load_b128 v[5:8], v0, s[48:49] offset:224
	v_mul_lo_u32 v0, v113, v17
	v_mul_lo_u32 v17, v113, v18
	;; [unrolled: 1-line block ×4, first 2 shown]
	v_and_b32_e32 v20, 0xff, v21
	v_lshrrev_b32_e32 v21, 4, v21
	v_and_b32_e32 v23, 0xff, v22
	v_and_b32_e32 v24, 0xff, v0
	v_lshrrev_b32_e32 v0, 4, v0
	v_and_b32_e32 v25, 0xff, v17
	v_lshrrev_b32_e32 v22, 4, v22
	v_lshrrev_b32_e32 v17, 4, v17
	v_and_b32_e32 v26, 0xff, v18
	v_lshrrev_b32_e32 v18, 4, v18
	v_and_b32_e32 v27, 0xff, v19
	v_lshrrev_b32_e32 v33, 4, v19
	v_lshlrev_b32_e32 v19, 4, v20
	v_lshlrev_b32_e32 v34, 4, v24
	v_and_or_b32 v21, v21, s23, 0x1000
	v_and_or_b32 v0, v0, s23, 0x1000
	v_lshlrev_b32_e32 v23, 4, v23
	v_lshlrev_b32_e32 v37, 4, v25
	v_and_or_b32 v29, v22, s23, 0x1000
	v_and_or_b32 v41, v17, s23, 0x1000
	v_lshlrev_b32_e32 v42, 4, v26
	v_and_or_b32 v45, v18, s23, 0x1000
	v_lshlrev_b32_e32 v46, 4, v27
	v_and_or_b32 v61, v33, s23, 0x1000
	s_clause 0xb
	global_load_b128 v[17:20], v19, s[8:9]
	global_load_b128 v[25:28], v21, s[8:9]
	;; [unrolled: 1-line block ×12, first 2 shown]
	v_mul_u32_u24_e32 v0, 0x70, v255
	s_delay_alu instid0(VALU_DEP_1)
	v_add3_u32 v0, 0, v0, v114
	ds_load_b128 v[114:117], v0 offset:9520
	ds_load_b128 v[118:121], v0 offset:22848
	ds_load_b128 v[122:125], v0 offset:7616
	ds_load_b128 v[126:129], v0 offset:24752
	ds_load_b128 v[130:133], v0 offset:5712
	ds_load_b128 v[134:137], v0 offset:26656
	ds_load_b128 v[138:141], v0 offset:1904
	ds_load_b128 v[142:145], v0 offset:30464
	ds_load_b128 v[146:149], v0 offset:3808
	ds_load_b128 v[150:153], v0 offset:28560
	ds_load_b128 v[154:157], v0 offset:15232
	ds_load_b128 v[158:161], v0 offset:17136
	ds_load_b128 v[162:165], v0 offset:13328
	ds_load_b128 v[166:169], v0 offset:11424
	ds_load_b128 v[170:173], v0 offset:19040
	ds_load_b128 v[174:177], v0 offset:20944
	s_waitcnt vmcnt(27) lgkmcnt(15)
	v_mul_f64 v[178:179], v[114:115], v[71:72]
	s_waitcnt vmcnt(26) lgkmcnt(14)
	v_mul_f64 v[180:181], v[118:119], v[79:80]
	;; [unrolled: 2-line block ×4, first 2 shown]
	v_mul_f64 v[206:207], v[128:129], v[107:108]
	s_waitcnt vmcnt(22) lgkmcnt(10)
	v_mul_f64 v[188:189], v[134:135], v[99:100]
	v_mul_f64 v[186:187], v[130:131], v[103:104]
	s_waitcnt vmcnt(20) lgkmcnt(8)
	v_mul_f64 v[192:193], v[142:143], v[95:96]
	;; [unrolled: 3-line block ×3, first 2 shown]
	v_mul_f64 v[200:201], v[156:157], v[87:88]
	v_mul_f64 v[190:191], v[138:139], v[91:92]
	s_waitcnt vmcnt(13) lgkmcnt(4)
	v_mul_f64 v[198:199], v[158:159], v[83:84]
	v_mul_f64 v[194:195], v[116:117], v[71:72]
	;; [unrolled: 1-line block ×8, first 2 shown]
	s_waitcnt lgkmcnt(3)
	v_mul_f64 v[204:205], v[162:163], v[75:76]
	v_mul_f64 v[75:76], v[164:165], v[75:76]
	v_fma_f64 v[107:108], v[116:117], v[69:70], v[178:179]
	v_fma_f64 v[95:96], v[120:121], v[77:78], v[180:181]
	;; [unrolled: 1-line block ×4, first 2 shown]
	s_waitcnt lgkmcnt(2)
	v_mul_f64 v[128:129], v[166:167], v[11:12]
	v_fma_f64 v[99:100], v[136:137], v[97:98], v[188:189]
	v_mul_f64 v[136:137], v[168:169], v[11:12]
	v_fma_f64 v[71:72], v[144:145], v[93:94], v[192:193]
	v_mul_f64 v[144:145], v[146:147], v[3:4]
	s_waitcnt vmcnt(12)
	v_mul_f64 v[178:179], v[150:151], v[7:8]
	v_mul_f64 v[180:181], v[148:149], v[3:4]
	;; [unrolled: 1-line block ×3, first 2 shown]
	s_waitcnt vmcnt(10)
	v_mul_f64 v[11:12], v[19:20], v[27:28]
	s_waitcnt vmcnt(2)
	v_mul_f64 v[7:8], v[43:44], v[59:60]
	v_mul_f64 v[216:217], v[41:42], v[59:60]
	v_fma_f64 v[59:60], v[160:161], v[81:82], v[198:199]
	v_mul_f64 v[214:215], v[39:40], v[55:56]
	v_mul_f64 v[3:4], v[37:38], v[55:56]
	v_fma_f64 v[55:56], v[126:127], v[105:106], -v[206:207]
	v_fma_f64 v[184:185], v[132:133], v[101:102], v[186:187]
	v_fma_f64 v[124:125], v[140:141], v[89:90], v[190:191]
	s_waitcnt lgkmcnt(0)
	v_mul_f64 v[132:133], v[174:175], v[15:16]
	v_mul_f64 v[140:141], v[176:177], v[15:16]
	;; [unrolled: 1-line block ×3, first 2 shown]
	v_fma_f64 v[126:127], v[130:131], v[101:102], -v[208:209]
	v_fma_f64 v[130:131], v[138:139], v[89:90], -v[91:92]
	ds_load_b128 v[89:92], v0
	v_fma_f64 v[250:251], v[156:157], v[85:86], v[196:197]
	v_fma_f64 v[200:201], v[154:155], v[85:86], -v[200:201]
	v_mul_f64 v[188:189], v[23:24], v[31:32]
	v_mul_f64 v[190:191], v[21:22], v[31:32]
	;; [unrolled: 1-line block ×3, first 2 shown]
	v_fma_f64 v[220:221], v[114:115], v[69:70], -v[194:195]
	v_mul_f64 v[194:195], v[33:34], v[51:52]
	v_mul_f64 v[116:117], v[170:171], v[67:68]
	v_fma_f64 v[51:52], v[134:135], v[97:98], -v[210:211]
	v_mul_f64 v[120:121], v[172:173], v[67:68]
	s_waitcnt vmcnt(0)
	v_mul_f64 v[218:219], v[47:48], v[63:64]
	v_fma_f64 v[31:32], v[118:119], v[77:78], -v[79:80]
	v_dual_mov_b32 v106, v96 :: v_dual_mov_b32 v105, v95
	v_dual_mov_b32 v187, v88 :: v_dual_mov_b32 v186, v87
	v_fma_f64 v[97:98], v[168:169], v[9:10], v[128:129]
	v_fma_f64 v[101:102], v[166:167], v[9:10], -v[136:137]
	scratch_store_b64 off, v[105:106], off offset:124 ; 8-byte Folded Spill
	v_fma_f64 v[103:104], v[122:123], v[109:110], -v[111:112]
	scratch_store_b64 off, v[186:187], off offset:164 ; 8-byte Folded Spill
	v_fma_f64 v[85:86], v[146:147], v[1:2], -v[180:181]
	v_mul_f64 v[122:123], v[45:46], v[63:64]
	v_add_f64 v[134:135], v[107:108], v[95:96]
	v_add_f64 v[138:139], v[254:255], v[87:88]
	v_fma_f64 v[27:28], v[142:143], v[93:94], -v[212:213]
	scratch_store_b64 off, v[59:60], off offset:184 ; 8-byte Folded Spill
	v_fma_f64 v[59:60], v[158:159], v[81:82], -v[202:203]
	v_fma_f64 v[81:82], v[148:149], v[1:2], v[144:145]
	v_fma_f64 v[0:1], v[17:18], v[25:26], -v[11:12]
	s_clause 0x1
	scratch_store_b64 off, v[99:100], off offset:148
	scratch_store_b64 off, v[71:72], off offset:28
	v_add_f64 v[156:157], v[124:125], v[71:72]
	v_add_f64 v[160:161], v[124:125], -v[71:72]
	v_fma_f64 v[9:10], v[174:175], v[13:14], -v[140:141]
	v_dual_mov_b32 v88, v56 :: v_dual_mov_b32 v87, v55
	v_add_f64 v[142:143], v[184:185], v[99:100]
	v_fma_f64 v[111:112], v[164:165], v[73:74], v[204:205]
	v_fma_f64 v[109:110], v[162:163], v[73:74], -v[75:76]
	v_dual_mov_b32 v72, v52 :: v_dual_mov_b32 v71, v51
	v_add_f64 v[17:18], v[220:221], -v[31:32]
	v_mul_f64 v[136:137], v[134:135], s[24:25]
	v_mul_f64 v[140:141], v[138:139], s[0:1]
	;; [unrolled: 1-line block ×4, first 2 shown]
	scratch_store_b64 off, v[59:60], off offset:220 ; 8-byte Folded Spill
	v_fma_f64 v[59:60], v[172:173], v[65:66], v[116:117]
	scratch_store_b64 off, v[0:1], off offset:4 ; 8-byte Folded Spill
	v_fma_f64 v[0:1], v[19:20], v[25:26], v[15:16]
	v_add_f64 v[19:20], v[103:104], -v[55:56]
	s_waitcnt lgkmcnt(0)
	v_add_f64 v[55:56], v[91:92], v[124:125]
	v_mul_f64 v[124:125], v[138:139], s[30:31]
	v_mul_f64 v[172:173], v[134:135], s[36:37]
	;; [unrolled: 1-line block ×6, first 2 shown]
	v_add_f64 v[25:26], v[130:131], -v[27:28]
	v_mul_f64 v[146:147], v[156:157], s[36:37]
	v_mul_f64 v[154:155], v[156:157], s[30:31]
	;; [unrolled: 1-line block ×6, first 2 shown]
	scratch_store_b64 off, v[0:1], off offset:212 ; 8-byte Folded Spill
	v_fma_f64 v[0:1], v[21:22], v[29:30], -v[188:189]
	v_fma_f64 v[242:243], v[19:20], s[62:63], v[174:175]
	v_fma_f64 v[248:249], v[19:20], s[40:41], v[180:181]
	;; [unrolled: 1-line block ×8, first 2 shown]
	scratch_store_b64 off, v[0:1], off offset:196 ; 8-byte Folded Spill
	v_fma_f64 v[0:1], v[23:24], v[29:30], v[190:191]
	v_add_f64 v[29:30], v[130:131], v[27:28]
	v_add_f64 v[23:24], v[126:127], -v[51:52]
	v_add_f64 v[224:225], v[91:92], v[224:225]
	v_add_f64 v[228:229], v[91:92], v[228:229]
	;; [unrolled: 1-line block ×6, first 2 shown]
	scratch_store_b64 off, v[0:1], off offset:204 ; 8-byte Folded Spill
	v_fma_f64 v[0:1], v[33:34], v[49:50], -v[192:193]
	v_fma_f64 v[226:227], v[29:30], s[30:31], v[158:159]
	v_fma_f64 v[230:231], v[29:30], s[26:27], v[164:165]
	;; [unrolled: 1-line block ×3, first 2 shown]
	v_fma_f64 v[168:169], v[29:30], s[18:19], -v[168:169]
	v_fma_f64 v[164:165], v[29:30], s[26:27], -v[164:165]
	;; [unrolled: 1-line block ×3, first 2 shown]
	v_fma_f64 v[204:205], v[23:24], s[34:35], v[128:129]
	v_fma_f64 v[128:129], v[23:24], s[64:65], v[128:129]
	scratch_store_b64 off, v[0:1], off offset:76 ; 8-byte Folded Spill
	v_fma_f64 v[0:1], v[35:36], v[49:50], v[194:195]
	v_mul_f64 v[49:50], v[138:139], s[12:13]
	v_fma_f64 v[194:195], v[19:20], s[56:57], v[124:125]
	v_add_f64 v[226:227], v[89:90], v[226:227]
	v_add_f64 v[230:231], v[89:90], v[230:231]
	;; [unrolled: 1-line block ×6, first 2 shown]
	scratch_store_b64 off, v[0:1], off offset:92 ; 8-byte Folded Spill
	v_fma_f64 v[0:1], v[37:38], v[53:54], -v[214:215]
	v_mul_f64 v[37:38], v[134:135], s[30:31]
	v_fma_f64 v[212:213], v[19:20], s[34:35], v[49:50]
	v_fma_f64 v[214:215], v[23:24], s[42:43], v[144:145]
	;; [unrolled: 1-line block ×3, first 2 shown]
	scratch_store_b64 off, v[0:1], off offset:44 ; 8-byte Folded Spill
	v_fma_f64 v[0:1], v[39:40], v[53:54], v[3:4]
	v_mul_f64 v[39:40], v[138:139], s[36:37]
	v_mul_f64 v[53:54], v[142:143], s[26:27]
	scratch_store_b64 off, v[0:1], off offset:84 ; 8-byte Folded Spill
	v_fma_f64 v[0:1], v[41:42], v[57:58], -v[7:8]
	scratch_store_b64 off, v[9:10], off offset:244 ; 8-byte Folded Spill
	v_fma_f64 v[9:10], v[152:153], v[5:6], v[178:179]
	v_mul_f64 v[152:153], v[138:139], s[24:25]
	v_mul_f64 v[178:179], v[134:135], s[0:1]
	;; [unrolled: 1-line block ×4, first 2 shown]
	v_fma_f64 v[240:241], v[19:20], s[50:51], v[39:40]
	scratch_store_b64 off, v[0:1], off offset:36 ; 8-byte Folded Spill
	v_fma_f64 v[0:1], v[43:44], v[57:58], v[216:217]
	v_mul_f64 v[43:44], v[156:157], s[0:1]
	v_mul_f64 v[57:58], v[156:157], s[14:15]
	v_fma_f64 v[216:217], v[25:26], s[44:45], v[146:147]
	v_fma_f64 v[118:119], v[19:20], s[58:59], v[138:139]
	;; [unrolled: 1-line block ×3, first 2 shown]
	scratch_store_b64 off, v[0:1], off offset:68 ; 8-byte Folded Spill
	v_fma_f64 v[0:1], v[45:46], v[61:62], -v[218:219]
	scratch_store_b64 off, v[59:60], off offset:228 ; 8-byte Folded Spill
	v_fma_f64 v[59:60], v[170:171], v[65:66], -v[120:121]
	v_mul_f64 v[45:46], v[160:161], s[54:55]
	v_fma_f64 v[218:219], v[29:30], s[36:37], v[148:149]
	v_fma_f64 v[148:149], v[29:30], s[36:37], -v[148:149]
	v_fma_f64 v[120:121], v[19:20], s[16:17], v[138:139]
	v_fma_f64 v[138:139], v[19:20], s[38:39], v[174:175]
	v_mul_f64 v[170:171], v[142:143], s[14:15]
	v_fma_f64 v[188:189], v[25:26], s[10:11], v[43:44]
	v_fma_f64 v[196:197], v[25:26], s[16:17], v[57:58]
	;; [unrolled: 1-line block ×3, first 2 shown]
	v_add_f64 v[216:217], v[91:92], v[216:217]
	v_add_f64 v[146:147], v[91:92], v[146:147]
	scratch_store_b64 off, v[0:1], off offset:20 ; 8-byte Folded Spill
	v_fma_f64 v[0:1], v[47:48], v[61:62], v[122:123]
	scratch_store_b64 off, v[59:60], off offset:236 ; 8-byte Folded Spill
	v_fma_f64 v[59:60], v[176:177], v[13:14], v[132:133]
	v_mul_f64 v[47:48], v[134:135], s[18:19]
	v_mul_f64 v[122:123], v[134:135], s[14:15]
	v_fma_f64 v[13:14], v[150:151], v[5:6], -v[182:183]
	v_mul_f64 v[150:151], v[134:135], s[12:13]
	v_mul_f64 v[134:135], v[134:135], s[26:27]
	;; [unrolled: 1-line block ×5, first 2 shown]
	v_fma_f64 v[190:191], v[29:30], s[0:1], v[45:46]
	v_add_f64 v[218:219], v[89:90], v[218:219]
	v_add_f64 v[148:149], v[89:90], v[148:149]
	v_mul_f64 v[176:177], v[142:143], s[0:1]
	v_mul_f64 v[182:183], v[142:143], s[36:37]
	;; [unrolled: 1-line block ×3, first 2 shown]
	v_fma_f64 v[95:96], v[23:24], s[58:59], v[170:171]
	v_add_f64 v[188:189], v[91:92], v[188:189]
	v_add_f64 v[196:197], v[91:92], v[196:197]
	;; [unrolled: 1-line block ×3, first 2 shown]
	v_fma_f64 v[170:171], v[23:24], s[16:17], v[170:171]
	s_clause 0x2
	scratch_store_b64 off, v[59:60], off offset:252
	scratch_store_b64 off, v[0:1], off offset:60
	;; [unrolled: 1-line block ×3, first 2 shown]
	v_fma_f64 v[0:1], v[17:18], s[56:57], v[37:38]
	s_clause 0x2
	scratch_store_b64 off, v[87:88], off offset:172
	scratch_store_b64 off, v[71:72], off offset:156
	scratch_store_b64 off, v[27:28], off offset:52
	v_add_f64 v[59:60], v[89:90], v[130:131]
	v_fma_f64 v[198:199], v[29:30], s[14:15], v[61:62]
	v_fma_f64 v[208:209], v[29:30], s[24:25], v[132:133]
	;; [unrolled: 1-line block ×3, first 2 shown]
	v_fma_f64 v[160:161], v[29:30], s[12:13], -v[160:161]
	v_fma_f64 v[132:133], v[29:30], s[24:25], -v[132:133]
	;; [unrolled: 1-line block ×4, first 2 shown]
	v_mul_f64 v[130:131], v[156:157], s[24:25]
	v_mul_f64 v[156:157], v[156:157], s[12:13]
	v_add_f64 v[190:191], v[89:90], v[190:191]
	v_fma_f64 v[244:245], v[23:24], s[10:11], v[176:177]
	v_fma_f64 v[93:94], v[23:24], s[44:45], v[182:183]
	;; [unrolled: 1-line block ×6, first 2 shown]
	scratch_store_b64 off, v[0:1], off offset:260 ; 8-byte Folded Spill
	v_fma_f64 v[0:1], v[19:20], s[44:45], v[39:40]
	v_add_f64 v[198:199], v[89:90], v[198:199]
	v_add_f64 v[208:209], v[89:90], v[208:209]
	;; [unrolled: 1-line block ×7, first 2 shown]
	v_fma_f64 v[89:90], v[23:24], s[60:61], v[41:42]
	v_fma_f64 v[206:207], v[25:26], s[28:29], v[130:131]
	;; [unrolled: 1-line block ×6, first 2 shown]
	scratch_store_b64 off, v[0:1], off offset:380 ; 8-byte Folded Spill
	v_fma_f64 v[0:1], v[17:18], s[38:39], v[47:48]
	v_add_f64 v[206:207], v[91:92], v[206:207]
	v_add_f64 v[236:237], v[91:92], v[236:237]
	;; [unrolled: 1-line block ×5, first 2 shown]
	v_fma_f64 v[91:92], v[23:24], s[40:41], v[53:54]
	scratch_store_b64 off, v[0:1], off offset:268 ; 8-byte Folded Spill
	v_fma_f64 v[0:1], v[19:20], s[64:65], v[49:50]
	scratch_store_b64 off, v[0:1], off offset:388 ; 8-byte Folded Spill
	;; [unrolled: 2-line block ×5, first 2 shown]
	v_fma_f64 v[0:1], v[19:20], s[54:55], v[140:141]
	v_fma_f64 v[140:141], v[19:20], s[10:11], v[140:141]
	scratch_store_b64 off, v[0:1], off offset:404 ; 8-byte Folded Spill
	v_fma_f64 v[0:1], v[17:18], s[64:65], v[150:151]
	scratch_store_b64 off, v[0:1], off offset:292 ; 8-byte Folded Spill
	v_fma_f64 v[0:1], v[19:20], s[28:29], v[152:153]
	v_fma_f64 v[152:153], v[19:20], s[60:61], v[152:153]
	scratch_store_b64 off, v[0:1], off offset:420 ; 8-byte Folded Spill
	v_fma_f64 v[0:1], v[17:18], s[50:51], v[172:173]
	scratch_store_b64 off, v[0:1], off offset:308 ; 8-byte Folded Spill
	;; [unrolled: 2-line block ×4, first 2 shown]
	v_fma_f64 v[0:1], v[17:18], s[40:41], v[134:135]
	v_fma_f64 v[134:135], v[19:20], s[52:53], v[180:181]
	v_dual_mov_b32 v21, v14 :: v_dual_mov_b32 v20, v13
	s_clause 0x1
	scratch_store_b64 off, v[20:21], off offset:108
	scratch_store_b64 off, v[0:1], off offset:364
	v_fma_f64 v[0:1], v[17:18], s[54:55], v[178:179]
	v_fma_f64 v[178:179], v[23:24], s[28:29], v[41:42]
	scratch_store_b64 off, v[0:1], off offset:356 ; 8-byte Folded Spill
	v_fma_f64 v[0:1], v[17:18], s[44:45], v[172:173]
	v_fma_f64 v[172:173], v[23:24], s[50:51], v[182:183]
	scratch_store_b64 off, v[0:1], off offset:348 ; 8-byte Folded Spill
	v_fma_f64 v[0:1], v[17:18], s[34:35], v[150:151]
	scratch_store_b64 off, v[0:1], off offset:340 ; 8-byte Folded Spill
	;; [unrolled: 2-line block ×5, first 2 shown]
	v_fma_f64 v[0:1], v[17:18], s[42:43], v[37:38]
	v_dual_mov_b32 v19, v10 :: v_dual_mov_b32 v18, v9
	v_add_f64 v[16:17], v[55:56], v[81:82]
	v_add_f64 v[55:56], v[59:60], v[85:86]
	;; [unrolled: 1-line block ×3, first 2 shown]
	s_delay_alu instid0(VALU_DEP_4)
	v_add_f64 v[41:42], v[81:82], v[18:19]
	s_clause 0x1
	scratch_store_b64 off, v[18:19], off offset:100
	scratch_store_b64 off, v[0:1], off offset:116
	v_add_f64 v[0:1], v[85:86], -v[20:21]
	v_add_f64 v[16:17], v[16:17], v[184:185]
	v_add_f64 v[54:55], v[55:56], v[126:127]
	v_mul_f64 v[124:125], v[41:42], s[14:15]
	v_mul_f64 v[180:181], v[41:42], s[36:37]
	;; [unrolled: 1-line block ×8, first 2 shown]
	v_add_f64 v[16:17], v[16:17], v[254:255]
	v_fma_f64 v[22:23], v[0:1], s[16:17], v[124:125]
	v_fma_f64 v[65:66], v[0:1], s[58:59], v[124:125]
	v_add_f64 v[124:125], v[107:108], -v[105:106]
	v_fma_f64 v[36:37], v[0:1], s[64:65], v[8:9]
	v_fma_f64 v[38:39], v[0:1], s[38:39], v[6:7]
	;; [unrolled: 1-line block ×14, first 2 shown]
	v_add_f64 v[0:1], v[220:221], v[31:32]
	v_add_f64 v[16:17], v[16:17], v[107:108]
	;; [unrolled: 1-line block ×4, first 2 shown]
	v_mul_f64 v[10:11], v[124:125], s[16:17]
	v_mul_f64 v[2:3], v[124:125], s[54:55]
	;; [unrolled: 1-line block ×8, first 2 shown]
	v_add_f64 v[36:37], v[36:37], v[216:217]
	v_add_f64 v[216:217], v[126:127], v[71:72]
	;; [unrolled: 1-line block ×18, first 2 shown]
	v_fma_f64 v[116:117], v[0:1], s[14:15], v[10:11]
	v_fma_f64 v[150:151], v[0:1], s[0:1], v[2:3]
	v_fma_f64 v[210:211], v[0:1], s[0:1], -v[2:3]
	v_fma_f64 v[2:3], v[0:1], s[14:15], -v[10:11]
	v_fma_f64 v[122:123], v[0:1], s[24:25], v[8:9]
	v_fma_f64 v[246:247], v[0:1], s[12:13], -v[6:7]
	v_fma_f64 v[136:137], v[0:1], s[36:37], v[4:5]
	v_fma_f64 v[192:193], v[0:1], s[26:27], v[124:125]
	v_fma_f64 v[202:203], v[0:1], s[26:27], -v[124:125]
	v_fma_f64 v[222:223], v[0:1], s[36:37], -v[4:5]
	v_fma_f64 v[124:125], v[0:1], s[12:13], v[6:7]
	v_fma_f64 v[252:253], v[0:1], s[24:25], -v[8:9]
	v_fma_f64 v[114:115], v[0:1], s[18:19], v[12:13]
	v_fma_f64 v[105:106], v[0:1], s[30:31], v[14:15]
	v_add_f64 v[26:27], v[176:177], v[26:27]
	v_add_f64 v[34:35], v[204:205], v[34:35]
	v_add_f64 v[36:37], v[214:215], v[36:37]
	v_add_f64 v[67:68], v[144:145], v[67:68]
	v_add_f64 v[75:76], v[91:92], v[75:76]
	scratch_load_b64 v[91:92], off, off offset:252 ; 8-byte Folded Reload
	v_add_f64 v[79:80], v[128:129], v[126:127]
	v_add_f64 v[63:64], v[174:175], v[63:64]
	v_add_f64 v[180:181], v[240:241], v[65:66]
	scratch_store_b64 off, v[2:3], off offset:428 ; 8-byte Folded Spill
	v_fma_f64 v[2:3], v[0:1], s[18:19], -v[12:13]
	v_fma_f64 v[0:1], v[0:1], s[30:31], -v[14:15]
	v_add_f64 v[14:15], v[81:82], -v[18:19]
	v_add_f64 v[67:68], v[140:141], v[67:68]
	s_clause 0x1
	scratch_store_b64 off, v[2:3], off offset:412
	scratch_store_b64 off, v[0:1], off offset:140
	v_mul_f64 v[81:82], v[14:15], s[10:11]
	v_mul_f64 v[85:86], v[14:15], s[28:29]
	;; [unrolled: 1-line block ×8, first 2 shown]
	v_fma_f64 v[24:25], v[59:60], s[0:1], v[81:82]
	v_fma_f64 v[81:82], v[59:60], s[0:1], -v[81:82]
	v_fma_f64 v[20:21], v[59:60], s[24:25], v[85:86]
	v_fma_f64 v[85:86], v[59:60], s[24:25], -v[85:86]
	v_fma_f64 v[18:19], v[59:60], s[30:31], v[0:1]
	v_fma_f64 v[30:31], v[59:60], s[30:31], -v[0:1]
	v_fma_f64 v[12:13], v[59:60], s[18:19], v[2:3]
	v_fma_f64 v[28:29], v[59:60], s[18:19], -v[2:3]
	v_fma_f64 v[10:11], v[59:60], s[12:13], v[4:5]
	v_fma_f64 v[32:33], v[59:60], s[12:13], -v[4:5]
	v_fma_f64 v[4:5], v[59:60], s[26:27], v[6:7]
	v_fma_f64 v[48:49], v[59:60], s[26:27], -v[6:7]
	v_fma_f64 v[2:3], v[59:60], s[36:37], v[8:9]
	v_fma_f64 v[8:9], v[59:60], s[36:37], -v[8:9]
	v_fma_f64 v[0:1], v[59:60], s[14:15], v[14:15]
	v_fma_f64 v[14:15], v[59:60], s[14:15], -v[14:15]
	v_add_f64 v[59:60], v[184:185], -v[99:100]
	v_add_f64 v[24:25], v[24:25], v[238:239]
	v_add_f64 v[81:82], v[81:82], v[160:161]
	v_add_f64 v[20:21], v[20:21], v[234:235]
	v_add_f64 v[85:86], v[85:86], v[168:169]
	v_add_f64 v[18:19], v[18:19], v[230:231]
	v_add_f64 v[30:31], v[30:31], v[164:165]
	v_add_f64 v[12:13], v[12:13], v[226:227]
	v_add_f64 v[28:29], v[28:29], v[158:159]
	v_add_f64 v[10:11], v[10:11], v[218:219]
	v_add_f64 v[32:33], v[32:33], v[148:149]
	v_add_f64 v[46:47], v[4:5], v[208:209]
	v_add_f64 v[48:49], v[48:49], v[132:133]
	v_add_f64 v[44:45], v[2:3], v[198:199]
	v_add_f64 v[8:9], v[8:9], v[77:78]
	v_add_f64 v[42:43], v[0:1], v[190:191]
	v_add_f64 v[14:15], v[14:15], v[73:74]
	v_mul_f64 v[196:197], v[59:60], s[56:57]
	v_mul_f64 v[188:189], v[59:60], s[40:41]
	;; [unrolled: 1-line block ×8, first 2 shown]
	v_fma_f64 v[6:7], v[216:217], s[30:31], v[196:197]
	v_fma_f64 v[2:3], v[216:217], s[26:27], v[188:189]
	;; [unrolled: 1-line block ×4, first 2 shown]
	v_fma_f64 v[206:207], v[216:217], s[0:1], -v[206:207]
	v_fma_f64 v[198:199], v[216:217], s[14:15], -v[198:199]
	v_fma_f64 v[4:5], v[216:217], s[12:13], v[190:191]
	v_fma_f64 v[0:1], v[216:217], s[24:25], v[184:185]
	;; [unrolled: 1-line block ×3, first 2 shown]
	v_fma_f64 v[59:60], v[216:217], s[18:19], -v[59:60]
	v_fma_f64 v[188:189], v[216:217], s[26:27], -v[188:189]
	v_fma_f64 v[224:225], v[216:217], s[36:37], v[208:209]
	v_fma_f64 v[208:209], v[216:217], s[36:37], -v[208:209]
	v_fma_f64 v[196:197], v[216:217], s[30:31], -v[196:197]
	v_fma_f64 v[190:191], v[216:217], s[12:13], -v[190:191]
	v_fma_f64 v[184:185], v[216:217], s[24:25], -v[184:185]
	v_add_f64 v[6:7], v[6:7], v[10:11]
	v_add_f64 v[10:11], v[95:96], v[38:39]
	;; [unrolled: 1-line block ×3, first 2 shown]
	v_add_f64 v[40:41], v[254:255], -v[186:187]
	v_add_f64 v[2:3], v[2:3], v[44:45]
	v_add_f64 v[44:45], v[103:104], v[87:88]
	v_add_f64 v[30:31], v[206:207], v[30:31]
	v_add_f64 v[28:29], v[198:199], v[28:29]
	scratch_load_b32 v254, off, off offset:192 ; 4-byte Folded Reload
	v_add_f64 v[0:1], v[0:1], v[42:43]
	v_add_f64 v[4:5], v[4:5], v[46:47]
	;; [unrolled: 1-line block ×12, first 2 shown]
	v_mul_f64 v[71:72], v[40:41], s[38:39]
	v_mul_f64 v[73:74], v[40:41], s[60:61]
	;; [unrolled: 1-line block ×8, first 2 shown]
	v_add_f64 v[42:43], v[42:43], v[220:221]
	v_fma_f64 v[146:147], v[44:45], s[18:19], v[71:72]
	v_fma_f64 v[71:72], v[44:45], s[18:19], -v[71:72]
	v_fma_f64 v[148:149], v[44:45], s[24:25], v[73:74]
	v_fma_f64 v[73:74], v[44:45], s[24:25], -v[73:74]
	;; [unrolled: 2-line block ×8, first 2 shown]
	v_add_f64 v[44:45], v[93:94], v[50:51]
	v_add_f64 v[50:51], v[83:84], v[52:53]
	;; [unrolled: 1-line block ×4, first 2 shown]
	scratch_load_b64 v[81:82], off, off offset:380 ; 8-byte Folded Reload
	v_add_f64 v[60:61], v[170:171], v[61:62]
	v_add_f64 v[58:59], v[172:173], v[69:70]
	;; [unrolled: 1-line block ×6, first 2 shown]
	scratch_load_b64 v[71:72], off, off offset:220 ; 8-byte Folded Reload
	v_add_f64 v[28:29], v[73:74], v[28:29]
	s_clause 0x1
	scratch_load_b64 v[73:74], off, off offset:244
	scratch_load_b64 v[93:94], off, off offset:184
	v_add_f64 v[12:13], v[148:149], v[12:13]
	v_add_f64 v[20:21], v[132:133], v[20:21]
	;; [unrolled: 1-line block ×32, first 2 shown]
	s_waitcnt vmcnt(4)
	v_add_nc_u32_e32 v84, 0x66, v254
	v_add_nc_u32_e32 v83, 0x77, v254
	;; [unrolled: 1-line block ×7, first 2 shown]
	s_delay_alu instid0(VALU_DEP_4) | instskip(NEXT) | instid1(VALU_DEP_4)
	v_mul_lo_u32 v87, v113, v87
	v_mul_lo_u32 v224, v113, v88
	s_delay_alu instid0(VALU_DEP_4) | instskip(NEXT) | instid1(VALU_DEP_4)
	v_mul_lo_u32 v126, v113, v85
	v_mul_lo_u32 v127, v113, v86
	s_delay_alu instid0(VALU_DEP_4) | instskip(SKIP_1) | instid1(VALU_DEP_4)
	v_and_b32_e32 v168, 0xff, v87
	v_lshrrev_b32_e32 v169, 4, v87
	v_and_b32_e32 v162, 0xff, v126
	v_lshrrev_b32_e32 v163, 4, v126
	;; [unrolled: 2-line block ×3, first 2 shown]
	v_and_or_b32 v241, v169, s23, 0x1000
	v_lshlrev_b32_e32 v233, 4, v162
	v_and_or_b32 v234, v163, s23, 0x1000
	v_lshlrev_b32_e32 v235, 4, v164
	v_and_or_b32 v240, v165, s23, 0x1000
	s_waitcnt vmcnt(3)
	v_add_f64 v[22:23], v[81:82], v[22:23]
	scratch_load_b64 v[81:82], off, off offset:388 ; 8-byte Folded Reload
	s_waitcnt vmcnt(3)
	v_mov_b32_e32 v217, v72
	v_add_f64 v[134:135], v[200:201], -v[71:72]
	s_waitcnt vmcnt(2)
	v_mov_b32_e32 v239, v74
	v_add_f64 v[176:177], v[101:102], -v[73:74]
	v_add_f64 v[170:171], v[101:102], v[73:74]
	v_mov_b32_e32 v238, v73
	v_add_f64 v[73:74], v[212:213], v[75:76]
	v_add_f64 v[75:76], v[103:104], v[8:9]
	scratch_load_b64 v[8:9], off, off offset:260 ; 8-byte Folded Reload
	s_waitcnt vmcnt(2)
	v_mov_b32_e32 v215, v94
	v_mul_lo_u32 v62, v113, v62
	v_mul_lo_u32 v89, v113, v83
	;; [unrolled: 1-line block ×3, first 2 shown]
	v_add_f64 v[244:245], v[200:201], v[71:72]
	v_mov_b32_e32 v216, v71
	v_add_f64 v[71:72], v[194:195], v[79:80]
	v_add_f64 v[142:143], v[250:251], -v[93:94]
	v_mov_b32_e32 v214, v93
	v_and_b32_e32 v88, 0xff, v62
	v_and_b32_e32 v158, 0xff, v89
	v_lshrrev_b32_e32 v159, 4, v89
	v_and_b32_e32 v160, 0xff, v90
	v_lshrrev_b32_e32 v161, 4, v90
	scratch_load_b64 v[89:90], off, off offset:228 ; 8-byte Folded Reload
	v_lshlrev_b32_e32 v225, 4, v88
	scratch_load_b64 v[87:88], off, off offset:236 ; 8-byte Folded Reload
	v_add_f64 v[83:84], v[97:98], v[91:92]
	v_add_f64 v[85:86], v[97:98], -v[91:92]
	v_lshrrev_b32_e32 v128, 4, v62
	v_add_f64 v[62:63], v[138:139], v[63:64]
	v_dual_mov_b32 v237, v92 :: v_dual_mov_b32 v236, v91
	v_lshlrev_b32_e32 v229, 4, v158
	s_delay_alu instid0(VALU_DEP_4)
	v_and_or_b32 v228, v128, s23, 0x1000
	v_and_or_b32 v230, v159, s23, 0x1000
	v_lshlrev_b32_e32 v231, 4, v160
	v_and_or_b32 v232, v161, s23, 0x1000
	v_mul_f64 v[144:145], v[142:143], s[34:35]
	v_mul_f64 v[77:78], v[142:143], s[10:11]
	;; [unrolled: 1-line block ×17, first 2 shown]
	v_fma_f64 v[107:108], v[176:177], s[52:53], v[178:179]
	v_fma_f64 v[118:119], v[170:171], s[0:1], v[42:43]
	;; [unrolled: 1-line block ×8, first 2 shown]
	v_fma_f64 v[95:96], v[170:171], s[36:37], -v[95:96]
	v_fma_f64 v[200:201], v[170:171], s[30:31], -v[40:41]
	v_add_f64 v[4:5], v[118:119], v[4:5]
	v_add_f64 v[2:3], v[114:115], v[2:3]
	s_waitcnt vmcnt(2)
	v_add_f64 v[22:23], v[8:9], v[22:23]
	scratch_load_b64 v[8:9], off, off offset:268 ; 8-byte Folded Reload
	v_add_f64 v[26:27], v[81:82], v[26:27]
	scratch_load_b64 v[81:82], off, off offset:396 ; 8-byte Folded Reload
	s_waitcnt vmcnt(3)
	v_add_f64 v[69:70], v[111:112], -v[89:90]
	v_add_f64 v[58:59], v[111:112], v[89:90]
	s_waitcnt vmcnt(2)
	v_add_f64 v[174:175], v[109:110], -v[87:88]
	v_add_f64 v[140:141], v[109:110], v[87:88]
	v_fma_f64 v[109:110], v[170:171], s[26:27], v[172:173]
	v_fma_f64 v[111:112], v[176:177], s[42:43], v[64:65]
	v_dual_mov_b32 v221, v90 :: v_dual_mov_b32 v220, v89
	v_mul_f64 v[89:90], v[85:86], s[38:39]
	v_mul_f64 v[85:86], v[85:86], s[28:29]
	v_dual_mov_b32 v243, v88 :: v_dual_mov_b32 v242, v87
	v_mul_f64 v[87:88], v[83:84], s[18:19]
	v_mul_f64 v[83:84], v[83:84], s[24:25]
	;; [unrolled: 1-line block ×6, first 2 shown]
	v_add_f64 v[0:1], v[109:110], v[0:1]
	v_mul_f64 v[118:119], v[58:59], s[0:1]
	v_mul_f64 v[156:157], v[69:70], s[28:29]
	;; [unrolled: 1-line block ×3, first 2 shown]
	v_fma_f64 v[122:123], v[170:171], s[18:19], v[89:90]
	v_mul_f64 v[196:197], v[69:70], s[54:55]
	v_fma_f64 v[89:90], v[170:171], s[18:19], -v[89:90]
	v_fma_f64 v[120:121], v[176:177], s[62:63], v[87:88]
	v_fma_f64 v[87:88], v[176:177], s[38:39], v[87:88]
	;; [unrolled: 1-line block ×3, first 2 shown]
	v_add_f64 v[6:7], v[122:123], v[6:7]
	v_mul_f64 v[122:123], v[69:70], s[34:35]
	v_add_f64 v[206:207], v[89:90], v[32:33]
	s_waitcnt vmcnt(1)
	v_add_f64 v[26:27], v[8:9], v[26:27]
	scratch_load_b64 v[8:9], off, off offset:276 ; 8-byte Folded Reload
	s_waitcnt vmcnt(1)
	v_add_f64 v[34:35], v[81:82], v[34:35]
	scratch_load_b64 v[81:82], off, off offset:404 ; 8-byte Folded Reload
	v_add_f64 v[26:27], v[111:112], v[26:27]
	v_fma_f64 v[111:112], v[140:141], s[18:19], v[146:147]
	s_delay_alu instid0(VALU_DEP_1)
	v_add_f64 v[0:1], v[111:112], v[0:1]
	v_fma_f64 v[111:112], v[244:245], s[12:13], v[144:145]
	s_waitcnt vmcnt(1)
	v_add_f64 v[34:35], v[8:9], v[34:35]
	scratch_load_b64 v[8:9], off, off offset:284 ; 8-byte Folded Reload
	s_waitcnt vmcnt(1)
	v_add_f64 v[36:37], v[81:82], v[36:37]
	scratch_load_b64 v[81:82], off, off offset:420 ; 8-byte Folded Reload
	v_add_f64 v[34:35], v[116:117], v[34:35]
	v_fma_f64 v[116:117], v[140:141], s[24:25], v[156:157]
	s_delay_alu instid0(VALU_DEP_1)
	v_add_f64 v[2:3], v[116:117], v[2:3]
	v_fma_f64 v[116:117], v[244:245], s[0:1], v[77:78]
	v_fma_f64 v[77:78], v[244:245], s[0:1], -v[77:78]
	s_waitcnt vmcnt(1)
	v_add_f64 v[36:37], v[8:9], v[36:37]
	scratch_load_b64 v[8:9], off, off offset:292 ; 8-byte Folded Reload
	s_waitcnt vmcnt(1)
	v_add_f64 v[10:11], v[81:82], v[10:11]
	v_add_nc_u32_e32 v82, 0x88, v254
	v_add_nc_u32_e32 v81, 0x99, v254
	s_delay_alu instid0(VALU_DEP_2) | instskip(NEXT) | instid1(VALU_DEP_2)
	v_mul_lo_u32 v82, v113, v82
	v_mul_lo_u32 v81, v113, v81
	s_delay_alu instid0(VALU_DEP_2) | instskip(NEXT) | instid1(VALU_DEP_2)
	v_and_b32_e32 v154, 0xff, v82
	v_and_b32_e32 v132, 0xff, v81
	v_lshrrev_b32_e32 v133, 4, v81
	v_lshrrev_b32_e32 v155, 4, v82
	v_add_f64 v[81:82], v[250:251], v[93:94]
	v_mul_f64 v[93:94], v[58:59], s[24:25]
	v_add_f64 v[36:37], v[120:121], v[36:37]
	v_mul_f64 v[120:121], v[58:59], s[12:13]
	s_delay_alu instid0(VALU_DEP_4)
	v_mul_f64 v[152:153], v[81:82], s[12:13]
	v_mul_f64 v[148:149], v[81:82], s[0:1]
	v_fma_f64 v[114:115], v[174:175], s[60:61], v[93:94]
	v_mul_f64 v[186:187], v[81:82], s[18:19]
	v_mul_f64 v[192:193], v[81:82], s[14:15]
	;; [unrolled: 1-line block ×6, first 2 shown]
	v_fma_f64 v[81:82], v[140:141], s[12:13], -v[122:123]
	v_fma_f64 v[138:139], v[134:135], s[34:35], v[152:153]
	s_waitcnt vmcnt(0)
	v_add_f64 v[97:98], v[8:9], v[10:11]
	scratch_load_b64 v[8:9], off, off offset:308 ; 8-byte Folded Reload
	v_add_f64 v[11:12], v[124:125], v[12:13]
	v_fma_f64 v[124:125], v[176:177], s[50:51], v[91:92]
	v_fma_f64 v[91:92], v[176:177], s[44:45], v[91:92]
	s_delay_alu instid0(VALU_DEP_3) | instskip(SKIP_1) | instid1(VALU_DEP_4)
	v_add_f64 v[11:12], v[126:127], v[11:12]
	v_fma_f64 v[126:127], v[134:135], s[64:65], v[152:153]
	v_add_f64 v[97:98], v[124:125], v[97:98]
	v_fma_f64 v[124:125], v[174:175], s[44:45], v[150:151]
	s_delay_alu instid0(VALU_DEP_1)
	v_add_f64 v[34:35], v[124:125], v[34:35]
	v_fma_f64 v[124:125], v[176:177], s[56:57], v[64:65]
	s_waitcnt vmcnt(0)
	v_add_f64 v[38:39], v[8:9], v[38:39]
	scratch_load_b64 v[8:9], off, off offset:300 ; 8-byte Folded Reload
	v_add_f64 v[38:39], v[128:129], v[38:39]
	s_waitcnt vmcnt(0)
	v_add_f64 v[44:45], v[8:9], v[44:45]
	scratch_load_b64 v[8:9], off, off offset:372 ; 8-byte Folded Reload
	s_waitcnt vmcnt(0)
	v_add_f64 v[50:51], v[8:9], v[50:51]
	scratch_load_b64 v[8:9], off, off offset:364 ; 8-byte Folded Reload
	s_waitcnt vmcnt(0)
	v_add_f64 v[52:53], v[8:9], v[52:53]
	scratch_load_b64 v[8:9], off, off offset:356 ; 8-byte Folded Reload
	s_waitcnt vmcnt(0)
	v_add_f64 v[56:57], v[8:9], v[56:57]
	scratch_load_b64 v[8:9], off, off offset:348 ; 8-byte Folded Reload
	s_waitcnt vmcnt(0)
	v_add_f64 v[62:63], v[8:9], v[62:63]
	scratch_load_b64 v[8:9], off, off offset:340 ; 8-byte Folded Reload
	v_add_f64 v[62:63], v[99:100], v[62:63]
	v_add_f64 v[99:100], v[111:112], v[0:1]
	s_waitcnt vmcnt(0)
	v_add_f64 v[60:61], v[8:9], v[60:61]
	scratch_load_b64 v[8:9], off, off offset:332 ; 8-byte Folded Reload
	v_add_f64 v[60:61], v[91:92], v[60:61]
	v_fma_f64 v[91:92], v[174:175], s[54:55], v[118:119]
	s_delay_alu instid0(VALU_DEP_1)
	v_add_f64 v[164:165], v[91:92], v[60:61]
	s_waitcnt vmcnt(0)
	v_add_f64 v[66:67], v[8:9], v[67:68]
	scratch_load_b64 v[8:9], off, off offset:324 ; 8-byte Folded Reload
	v_add_f64 v[208:209], v[87:88], v[66:67]
	v_fma_f64 v[66:67], v[174:175], s[10:11], v[118:119]
	s_delay_alu instid0(VALU_DEP_1)
	v_add_f64 v[66:67], v[66:67], v[97:98]
	v_fma_f64 v[97:98], v[244:245], s[18:19], v[188:189]
	v_fma_f64 v[188:189], v[244:245], s[18:19], -v[188:189]
	s_waitcnt vmcnt(0)
	v_add_f64 v[71:72], v[8:9], v[71:72]
	scratch_load_b64 v[8:9], off, off offset:428 ; 8-byte Folded Reload
	s_waitcnt vmcnt(0)
	v_add_f64 v[184:185], v[8:9], v[48:49]
	scratch_load_b64 v[48:49], off, off offset:316 ; 8-byte Folded Reload
	v_mul_f64 v[9:10], v[69:70], s[50:51]
	v_lshlrev_b32_e32 v8, 4, v132
	s_waitcnt vmcnt(0)
	v_add_f64 v[210:211], v[48:49], v[73:74]
	scratch_load_b64 v[73:74], off, off offset:412 ; 8-byte Folded Reload
	v_fma_f64 v[48:49], v[170:171], s[14:15], v[101:102]
	v_fma_f64 v[101:102], v[170:171], s[14:15], -v[101:102]
	s_delay_alu instid0(VALU_DEP_2) | instskip(SKIP_2) | instid1(VALU_DEP_4)
	v_add_f64 v[17:18], v[48:49], v[18:19]
	v_mul_f64 v[48:49], v[58:59], s[14:15]
	v_mul_f64 v[58:59], v[58:59], s[30:31]
	v_add_f64 v[30:31], v[101:102], v[30:31]
	s_delay_alu instid0(VALU_DEP_3) | instskip(NEXT) | instid1(VALU_DEP_3)
	v_fma_f64 v[87:88], v[174:175], s[58:59], v[48:49]
	v_fma_f64 v[0:1], v[174:175], s[56:57], v[58:59]
	;; [unrolled: 1-line block ×4, first 2 shown]
	s_waitcnt vmcnt(0)
	v_add_f64 v[226:227], v[73:74], v[75:76]
	v_add_f64 v[75:76], v[14:15], v[250:251]
	v_fma_f64 v[13:14], v[170:171], s[12:13], v[105:106]
	v_add_f64 v[15:16], v[107:108], v[22:23]
	v_fma_f64 v[22:23], v[176:177], s[60:61], v[83:84]
	v_fma_f64 v[83:84], v[176:177], s[28:29], v[83:84]
	;; [unrolled: 1-line block ×4, first 2 shown]
	v_fma_f64 v[85:86], v[170:171], s[24:25], -v[85:86]
	v_fma_f64 v[103:104], v[176:177], s[34:35], v[103:104]
	v_fma_f64 v[105:106], v[170:171], s[12:13], -v[105:106]
	v_add_f64 v[226:227], v[200:201], v[226:227]
	v_add_f64 v[32:33], v[75:76], v[214:215]
	v_add_f64 v[19:20], v[13:14], v[20:21]
	v_add_f64 v[109:110], v[109:110], v[15:16]
	v_add_f64 v[21:22], v[22:23], v[50:51]
	v_add_f64 v[52:53], v[83:84], v[52:53]
	v_add_f64 v[44:45], v[73:74], v[44:45]
	v_mul_f64 v[73:74], v[69:70], s[16:17]
	v_fma_f64 v[50:51], v[140:141], s[36:37], v[9:10]
	v_add_f64 v[23:24], v[107:108], v[24:25]
	v_add_f64 v[25:26], v[114:115], v[26:27]
	v_fma_f64 v[114:115], v[134:135], s[54:55], v[148:149]
	v_mul_f64 v[68:69], v[69:70], s[42:43]
	v_add_f64 v[46:47], v[85:86], v[46:47]
	v_add_f64 v[56:57], v[103:104], v[56:57]
	v_add_f64 v[54:55], v[105:106], v[54:55]
	v_add_f64 v[15:16], v[95:96], v[28:29]
	v_add_f64 v[103:104], v[116:117], v[2:3]
	v_add_f64 v[75:76], v[130:131], v[216:217]
	v_lshlrev_b32_e32 v70, 4, v154
	v_and_or_b32 v130, v155, s23, 0x1000
	v_fma_f64 v[107:108], v[174:175], s[40:41], v[222:223]
	v_mul_f64 v[13:14], v[142:143], s[40:41]
	v_fma_f64 v[27:28], v[140:141], s[26:27], v[190:191]
	v_fma_f64 v[83:84], v[140:141], s[0:1], v[196:197]
	;; [unrolled: 1-line block ×3, first 2 shown]
	v_mul_f64 v[214:215], v[142:143], s[42:43]
	v_and_or_b32 v29, v133, s23, 0x1000
	v_fma_f64 v[105:106], v[134:135], s[52:53], v[198:199]
	v_fma_f64 v[9:10], v[140:141], s[36:37], -v[9:10]
	v_fma_f64 v[198:199], v[134:135], s[40:41], v[198:199]
	v_fma_f64 v[148:149], v[134:135], s[10:11], v[148:149]
	v_add_f64 v[116:117], v[32:33], v[220:221]
	v_add_f64 v[95:96], v[126:127], v[109:110]
	;; [unrolled: 1-line block ×4, first 2 shown]
	v_fma_f64 v[58:59], v[134:135], s[50:51], v[218:219]
	v_fma_f64 v[89:90], v[140:141], s[14:15], v[73:74]
	v_add_f64 v[4:5], v[50:51], v[4:5]
	v_fma_f64 v[50:51], v[140:141], s[12:13], v[122:123]
	v_fma_f64 v[122:123], v[170:171], s[0:1], -v[42:43]
	v_add_f64 v[101:102], v[114:115], v[25:26]
	v_fma_f64 v[25:26], v[140:141], s[30:31], v[68:69]
	v_fma_f64 v[2:3], v[140:141], s[30:31], -v[68:69]
	v_fma_f64 v[68:69], v[140:141], s[14:15], -v[73:74]
	v_fma_f64 v[73:74], v[174:175], s[34:35], v[120:121]
	v_add_f64 v[160:161], v[48:49], v[56:57]
	v_fma_f64 v[114:115], v[134:135], s[56:57], v[212:213]
	v_add_f64 v[75:76], v[75:76], v[242:243]
	v_add_f64 v[36:37], v[107:108], v[36:37]
	;; [unrolled: 1-line block ×4, first 2 shown]
	v_fma_f64 v[27:28], v[134:135], s[62:63], v[186:187]
	v_add_f64 v[11:12], v[83:84], v[11:12]
	v_fma_f64 v[83:84], v[134:135], s[58:59], v[192:193]
	v_add_f64 v[38:39], v[85:86], v[38:39]
	v_fma_f64 v[44:45], v[244:245], s[26:27], v[13:14]
	v_fma_f64 v[87:88], v[134:135], s[60:61], v[202:203]
	;; [unrolled: 1-line block ×4, first 2 shown]
	v_fma_f64 v[13:14], v[244:245], s[26:27], -v[13:14]
	v_fma_f64 v[192:193], v[134:135], s[16:17], v[192:193]
	v_fma_f64 v[186:187], v[134:135], s[38:39], v[186:187]
	v_fma_f64 v[194:195], v[244:245], s[14:15], -v[194:195]
	v_add_f64 v[236:237], v[116:117], v[236:237]
	scratch_store_b64 off, v[0:1], off offset:184 ; 8-byte Folded Spill
	scratch_load_b64 v[0:1], off, off offset:212 ; 8-byte Folded Reload
	v_add_f64 v[109:110], v[89:90], v[19:20]
	v_fma_f64 v[89:90], v[244:245], s[24:25], v[204:205]
	v_add_f64 v[50:51], v[50:51], v[17:18]
	v_add_f64 v[132:133], v[97:98], v[4:5]
	v_fma_f64 v[97:98], v[170:171], s[26:27], -v[172:173]
	v_add_f64 v[216:217], v[25:26], v[23:24]
	v_add_f64 v[154:155], v[2:3], v[46:47]
	;; [unrolled: 1-line block ×9, first 2 shown]
	v_and_b32_e32 v11, 0xff, v224
	v_add_f64 v[128:129], v[85:86], v[6:7]
	v_lshrrev_b32_e32 v12, 4, v224
	v_add_f64 v[85:86], v[114:115], v[107:108]
	s_delay_alu instid0(VALU_DEP_4) | instskip(NEXT) | instid1(VALU_DEP_3)
	v_lshlrev_b32_e32 v242, 4, v11
	v_and_or_b32 v243, v12, s23, 0x1000
	v_add_f64 v[83:84], v[52:53], v[109:110]
	v_add_f64 v[89:90], v[89:90], v[50:51]
	s_waitcnt vmcnt(0)
	v_mul_f64 v[68:69], v[99:100], v[0:1]
	v_mul_f64 v[118:119], v[95:96], v[0:1]
	s_clause 0x1
	global_load_b128 v[0:3], v225, s[8:9]
	global_load_b128 v[17:20], v228, s[8:9]
	scratch_load_b64 v[21:22], off, off offset:204 ; 8-byte Folded Reload
	v_lshlrev_b32_e32 v225, 4, v168
	v_add_f64 v[168:169], v[81:82], v[30:31]
	v_add_f64 v[81:82], v[58:59], v[111:112]
	v_fma_f64 v[111:112], v[140:141], s[0:1], -v[196:197]
	s_delay_alu instid0(VALU_DEP_1)
	v_add_f64 v[15:16], v[111:112], v[15:16]
	s_waitcnt vmcnt(1)
	v_mul_f64 v[109:110], v[0:1], v[19:20]
	s_waitcnt vmcnt(0)
	v_mul_f64 v[73:74], v[103:104], v[21:22]
	v_mul_f64 v[120:121], v[101:102], v[21:22]
	s_clause 0x9
	global_load_b128 v[21:24], v8, s[8:9]
	global_load_b128 v[25:28], v29, s[8:9]
	;; [unrolled: 1-line block ×10, first 2 shown]
	scratch_load_b64 v[4:5], off, off offset:4 ; 8-byte Folded Reload
	v_add_f64 v[130:131], v[105:106], v[66:67]
	v_add_f64 v[228:229], v[79:80], v[71:72]
	v_fma_f64 v[79:80], v[174:175], s[38:39], v[182:183]
	v_mul_f64 v[105:106], v[142:143], s[44:45]
	v_mul_f64 v[19:20], v[2:3], v[19:20]
	v_add_f64 v[232:233], v[122:123], v[184:185]
	v_add_f64 v[230:231], v[124:125], v[210:211]
	v_fma_f64 v[2:3], v[2:3], v[17:18], v[109:110]
	s_delay_alu instid0(VALU_DEP_3)
	v_add_f64 v[9:10], v[9:10], v[232:233]
	s_waitcnt vmcnt(7)
	v_mul_f64 v[111:112], v[29:30], v[35:36]
	v_mul_f64 v[35:36], v[31:32], v[35:36]
	s_waitcnt vmcnt(3)
	v_mul_f64 v[196:197], v[45:46], v[51:52]
	s_waitcnt vmcnt(0)
	v_fma_f64 v[6:7], v[95:96], v[4:5], v[68:69]
	v_fma_f64 v[4:5], v[99:100], v[4:5], -v[118:119]
	scratch_store_b128 off, v[4:7], off offset:4 ; 16-byte Folded Spill
	s_clause 0x1
	global_load_b128 v[57:60], v235, s[8:9]
	global_load_b128 v[65:68], v240, s[8:9]
	scratch_load_b64 v[4:5], off, off offset:196 ; 8-byte Folded Reload
	v_fma_f64 v[234:235], v[174:175], s[52:53], v[222:223]
	v_fma_f64 v[222:223], v[174:175], s[50:51], v[150:151]
	;; [unrolled: 1-line block ×3, first 2 shown]
	v_mul_f64 v[202:203], v[53:54], v[63:64]
	s_delay_alu instid0(VALU_DEP_3)
	v_add_f64 v[200:201], v[222:223], v[228:229]
	s_waitcnt vmcnt(0)
	v_fma_f64 v[7:8], v[101:102], v[4:5], v[73:74]
	v_fma_f64 v[5:6], v[103:104], v[4:5], -v[120:121]
	v_add_nc_u32_e32 v4, 17, v254
	s_clause 0x1
	global_load_b128 v[69:72], v225, s[8:9]
	global_load_b128 v[73:76], v241, s[8:9]
	v_fma_f64 v[224:225], v[174:175], s[28:29], v[93:94]
	s_clause 0x1
	global_load_b128 v[246:249], v242, s[8:9]
	global_load_b128 v[250:253], v243, s[8:9]
	v_fma_f64 v[93:94], v[176:177], s[40:41], v[178:179]
	v_mul_lo_u32 v4, v113, v4
	scratch_load_b64 v[95:96], off, off offset:116 ; 8-byte Folded Reload
	v_fma_f64 v[119:120], v[134:135], s[42:43], v[212:213]
	v_mul_f64 v[212:213], v[23:24], v[27:28]
	v_fma_f64 v[121:122], v[244:245], s[30:31], -v[214:215]
	v_and_b32_e32 v11, 0xff, v4
	v_lshrrev_b32_e32 v12, 4, v4
	v_mul_lo_u32 v4, v113, v254
	v_fma_f64 v[113:114], v[140:141], s[26:27], -v[190:191]
	v_fma_f64 v[190:191], v[244:245], s[24:25], -v[204:205]
	v_lshlrev_b32_e32 v11, 4, v11
	v_and_or_b32 v12, v12, s23, 0x1000
	s_clause 0x1
	global_load_b128 v[170:173], v11, s[8:9]
	global_load_b128 v[174:177], v12, s[8:9]
	scratch_load_b64 v[11:12], off, off offset:140 ; 8-byte Folded Reload
	v_and_b32_e32 v99, 0xff, v4
	v_lshrrev_b32_e32 v4, 4, v4
	v_mul_f64 v[204:205], v[57:58], v[67:68]
	scratch_load_b64 v[101:102], off, off offset:132 ; 8-byte Folded Reload
	v_lshlrev_b32_e32 v103, 4, v99
	v_and_or_b32 v4, v4, s23, 0x1000
	v_add_f64 v[123:124], v[119:120], v[160:161]
	v_mul_f64 v[119:120], v[39:40], v[43:44]
	v_add_f64 v[113:114], v[113:114], v[206:207]
	v_add_f64 v[206:207], v[224:225], v[230:231]
	s_waitcnt vmcnt(5)
	v_mul_f64 v[210:211], v[246:247], v[252:253]
	s_waitcnt vmcnt(4)
	v_add_f64 v[95:96], v[95:96], v[180:181]
	s_waitcnt vmcnt(1)
	v_add_f64 v[99:100], v[11:12], v[166:167]
	scratch_load_b64 v[11:12], off, off offset:124 ; 8-byte Folded Reload
	s_waitcnt vmcnt(1)
	v_add_f64 v[101:102], v[238:239], v[101:102]
	v_add_f64 v[93:94], v[93:94], v[95:96]
	v_fma_f64 v[95:96], v[140:141], s[24:25], -v[156:157]
	v_add_f64 v[97:98], v[97:98], v[99:100]
	s_delay_alu instid0(VALU_DEP_2)
	v_add_f64 v[95:96], v[95:96], v[226:227]
	s_waitcnt vmcnt(0)
	v_add_f64 v[11:12], v[236:237], v[11:12]
	s_clause 0x1
	global_load_b128 v[178:181], v103, s[8:9]
	global_load_b128 v[236:239], v4, s[8:9]
	s_clause 0x5
	scratch_load_b64 v[103:104], off, off offset:172
	scratch_load_b64 v[99:100], off, off offset:156
	;; [unrolled: 1-line block ×6, first 2 shown]
	s_mul_i32 s8, s47, s22
	s_mul_hi_u32 s9, s46, s22
	s_delay_alu instid0(SALU_CYCLE_1) | instskip(SKIP_1) | instid1(SALU_CYCLE_1)
	s_add_i32 s9, s9, s8
	s_mul_i32 s8, s46, s22
	s_lshl_b64 s[0:1], s[8:9], 4
	s_delay_alu instid0(SALU_CYCLE_1) | instskip(SKIP_2) | instid1(SALU_CYCLE_1)
	s_add_u32 s2, s2, s0
	s_addc_u32 s3, s3, s1
	s_lshl_b64 s[0:1], s[20:21], 4
	s_add_u32 s0, s2, s0
	s_addc_u32 s1, s3, s1
	s_waitcnt vmcnt(6)
	v_mul_f64 v[214:215], v[178:179], v[238:239]
	s_waitcnt vmcnt(5)
	v_add_f64 v[101:102], v[101:102], v[103:104]
	s_waitcnt vmcnt(4)
	s_delay_alu instid0(VALU_DEP_1) | instskip(SKIP_2) | instid1(VALU_DEP_2)
	v_add_f64 v[99:100], v[101:102], v[99:100]
	v_fma_f64 v[101:102], v[244:245], s[36:37], v[105:106]
	v_fma_f64 v[105:106], v[244:245], s[36:37], -v[105:106]
	v_add_f64 v[136:137], v[101:102], v[216:217]
	s_clause 0x1
	scratch_load_b64 v[101:102], off, off offset:108
	scratch_load_b64 v[240:241], off, off offset:76
	s_waitcnt vmcnt(4)
	v_mul_f64 v[103:104], v[132:133], v[115:116]
	s_waitcnt vmcnt(3)
	v_add_f64 v[107:108], v[11:12], v[107:108]
	v_add_f64 v[142:143], v[105:106], v[154:155]
	v_fma_f64 v[216:217], v[31:32], v[33:34], v[111:112]
	scratch_load_b64 v[31:32], off, off offset:60 ; 8-byte Folded Reload
	v_fma_f64 v[154:155], v[0:1], v[17:18], -v[19:20]
	s_waitcnt vmcnt(3)
	v_mul_f64 v[184:185], v[91:92], v[117:118]
	v_mul_f64 v[156:157], v[130:131], v[117:118]
	v_fma_f64 v[117:118], v[134:135], s[44:45], v[218:219]
	v_add_f64 v[134:135], v[121:122], v[158:159]
	v_add_f64 v[111:112], v[13:14], v[15:16]
	v_fma_f64 v[13:14], v[55:56], v[61:62], v[202:203]
	v_mul_f64 v[15:16], v[59:60], v[67:68]
	v_mul_f64 v[158:159], v[85:86], v[2:3]
	;; [unrolled: 1-line block ×3, first 2 shown]
	v_add_f64 v[105:106], v[194:195], v[113:114]
	v_fma_f64 v[33:34], v[29:30], v[33:34], -v[35:36]
	scratch_load_b64 v[0:1], off, off offset:44 ; 8-byte Folded Reload
	v_mul_f64 v[35:36], v[142:143], v[216:217]
	s_waitcnt vmcnt(3)
	v_add_f64 v[101:102], v[99:100], v[101:102]
	s_waitcnt vmcnt(2)
	v_fma_f64 v[11:12], v[220:221], v[240:241], v[103:104]
	s_clause 0x1
	scratch_load_b64 v[103:104], off, off offset:84
	scratch_load_b64 v[99:100], off, off offset:100
	v_add_f64 v[107:108], v[107:108], v[109:110]
	v_mul_f64 v[109:110], v[21:22], v[27:28]
	v_add_f64 v[27:28], v[79:80], v[93:94]
	v_fma_f64 v[93:94], v[244:245], s[12:13], -v[144:145]
	v_mul_f64 v[79:80], v[170:171], v[176:177]
	v_mul_f64 v[176:177], v[172:173], v[176:177]
	v_fma_f64 v[109:110], v[23:24], v[25:26], v[109:110]
	scratch_load_b64 v[23:24], off, off offset:184 ; 8-byte Folded Reload
	v_fma_f64 v[79:80], v[172:173], v[174:175], v[79:80]
	v_fma_f64 v[172:173], v[180:181], v[236:237], v[214:215]
	v_mul_f64 v[152:153], v[81:82], v[109:110]
	s_waitcnt vmcnt(2)
	v_mul_f64 v[166:167], v[128:129], v[103:104]
	v_mul_f64 v[182:183], v[126:127], v[103:104]
	v_fma_f64 v[103:104], v[140:141], s[18:19], -v[146:147]
	v_mul_f64 v[146:147], v[37:38], v[43:44]
	v_add_f64 v[43:44], v[150:151], v[162:163]
	v_mul_f64 v[162:163], v[47:48], v[51:52]
	v_fma_f64 v[37:38], v[37:38], v[41:42], -v[119:120]
	v_fma_f64 v[150:151], v[21:22], v[25:26], -v[212:213]
	v_add_f64 v[140:141], v[234:235], v[208:209]
	v_mul_f64 v[208:209], v[69:70], v[75:76]
	s_waitcnt vmcnt(1)
	v_add_f64 v[107:108], v[107:108], v[99:100]
	v_add_f64 v[99:100], v[148:149], v[206:207]
	;; [unrolled: 1-line block ×4, first 2 shown]
	scratch_load_b64 v[9:10], off, off offset:52 ; 8-byte Folded Reload
	s_waitcnt vmcnt(1)
	v_add_f64 v[144:145], v[117:118], v[23:24]
	v_fma_f64 v[121:122], v[39:40], v[41:42], v[146:147]
	v_add_f64 v[117:118], v[190:191], v[168:169]
	v_fma_f64 v[168:169], v[47:48], v[49:50], v[196:197]
	v_add_f64 v[47:48], v[198:199], v[164:165]
	v_mul_f64 v[164:165], v[55:56], v[63:64]
	v_fma_f64 v[190:191], v[59:60], v[65:66], v[204:205]
	v_add_f64 v[63:64], v[138:139], v[27:28]
	v_mul_f64 v[27:28], v[83:84], v[2:3]
	v_fma_f64 v[41:42], v[45:46], v[49:50], -v[162:163]
	v_fma_f64 v[49:50], v[57:58], v[65:66], -v[15:16]
	v_mul_f64 v[23:24], v[89:90], v[31:32]
	v_mul_f64 v[160:161], v[87:88], v[31:32]
	;; [unrolled: 1-line block ×3, first 2 shown]
	v_add_f64 v[55:56], v[186:187], v[200:201]
	v_mul_f64 v[186:187], v[71:72], v[75:76]
	v_fma_f64 v[188:189], v[71:72], v[73:74], v[208:209]
	v_add_f64 v[51:52], v[192:193], v[140:141]
	v_mul_f64 v[192:193], v[248:249], v[252:253]
	v_add_f64 v[75:76], v[77:78], v[95:96]
	v_fma_f64 v[77:78], v[248:249], v[250:251], v[210:211]
	v_fma_f64 v[57:58], v[170:171], v[174:175], -v[176:177]
	v_fma_f64 v[29:30], v[136:137], v[150:151], -v[152:153]
	v_fma_f64 v[15:16], v[126:127], v[0:1], v[166:167]
	v_add_f64 v[67:68], v[93:94], v[97:98]
	v_mul_f64 v[93:94], v[180:181], v[238:239]
	v_mul_f64 v[148:149], v[144:145], v[216:217]
	;; [unrolled: 1-line block ×6, first 2 shown]
	v_fma_f64 v[13:14], v[128:129], v[0:1], -v[182:183]
	s_clause 0x1
	scratch_load_b64 v[1:2], off, off offset:36
	scratch_load_b32 v0, off, off offset:180
	v_fma_f64 v[45:46], v[53:54], v[61:62], -v[164:165]
	v_mul_f64 v[65:66], v[79:80], v[63:64]
	v_mul_f64 v[113:114], v[105:106], v[190:191]
	;; [unrolled: 1-line block ×4, first 2 shown]
	v_fma_f64 v[31:32], v[81:82], v[150:151], v[31:32]
	v_fma_f64 v[35:36], v[144:145], v[33:34], v[35:36]
	v_fma_f64 v[53:54], v[69:70], v[73:74], -v[186:187]
	v_mul_f64 v[109:110], v[103:104], v[188:189]
	v_fma_f64 v[27:28], v[85:86], v[154:155], v[27:28]
	v_fma_f64 v[95:96], v[246:247], v[250:251], -v[192:193]
	scratch_load_b32 v81, off, off          ; 4-byte Folded Reload
	v_mul_f64 v[97:98], v[99:100], v[77:78]
	v_mul_f64 v[61:62], v[79:80], v[67:68]
	v_fma_f64 v[69:70], v[178:179], v[236:237], -v[93:94]
	v_fma_f64 v[33:34], v[142:143], v[33:34], -v[148:149]
	v_fma_f64 v[39:40], v[123:124], v[37:38], v[39:40]
	v_fma_f64 v[37:38], v[134:135], v[37:38], -v[146:147]
	v_fma_f64 v[47:48], v[47:48], v[45:46], v[121:122]
	;; [unrolled: 2-line block ×4, first 2 shown]
	v_fma_f64 v[61:62], v[57:58], v[67:68], -v[65:66]
	s_waitcnt vmcnt(3)
	v_add_f64 v[59:60], v[101:102], v[9:10]
	scratch_load_b64 v[9:10], off, off offset:28 ; 8-byte Folded Reload
	v_mul_f64 v[101:102], v[75:76], v[77:78]
	v_fma_f64 v[75:76], v[75:76], v[95:96], -v[97:98]
	v_mul_f64 v[73:74], v[59:60], v[172:173]
	s_delay_alu instid0(VALU_DEP_3)
	v_fma_f64 v[77:78], v[99:100], v[95:96], v[101:102]
	s_waitcnt vmcnt(3)
	v_fma_f64 v[19:20], v[130:131], v[1:2], v[184:185]
	s_waitcnt vmcnt(2)
	v_and_b32_e32 v25, 0xffff, v0
	v_fma_f64 v[17:18], v[91:92], v[1:2], -v[156:157]
	scratch_load_b64 v[0:1], off, off offset:20 ; 8-byte Folded Reload
	s_waitcnt vmcnt(1)
	v_add_f64 v[71:72], v[107:108], v[9:10]
	v_mul_f64 v[107:108], v[55:56], v[188:189]
	v_fma_f64 v[9:10], v[132:133], v[240:241], -v[115:116]
	v_mul_f64 v[115:116], v[51:52], v[190:191]
	v_fma_f64 v[55:56], v[55:56], v[53:54], v[109:110]
	v_fma_f64 v[51:52], v[51:52], v[49:50], v[113:114]
	v_mul_f64 v[93:94], v[71:72], v[172:173]
	v_fma_f64 v[67:68], v[71:72], v[69:70], v[73:74]
	v_fma_f64 v[53:54], v[103:104], v[53:54], -v[107:108]
	v_fma_f64 v[49:50], v[105:106], v[49:50], -v[115:116]
	s_waitcnt vmcnt(0)
	v_fma_f64 v[23:24], v[87:88], v[0:1], v[23:24]
	v_fma_f64 v[21:22], v[89:90], v[0:1], -v[160:161]
	v_mul_u32_u24_e32 v0, 0x227, v25
	v_mad_u64_u32 v[1:2], null, s6, v81, 0
	v_fma_f64 v[25:26], v[83:84], v[154:155], -v[158:159]
	s_delay_alu instid0(VALU_DEP_3) | instskip(NEXT) | instid1(VALU_DEP_1)
	v_lshrrev_b32_e32 v0, 16, v0
	v_mul_lo_u16 v0, 0x121, v0
	s_delay_alu instid0(VALU_DEP_1) | instskip(NEXT) | instid1(VALU_DEP_1)
	v_and_b32_e32 v0, 0xffff, v0
	v_add_nc_u32_e32 v0, v254, v0
	s_delay_alu instid0(VALU_DEP_1) | instskip(SKIP_3) | instid1(VALU_DEP_3)
	v_mad_u64_u32 v[3:4], null, s4, v0, 0
	v_add_nc_u32_e32 v71, 17, v0
	v_fma_f64 v[65:66], v[59:60], v[69:70], -v[93:94]
	v_add_nc_u32_e32 v74, 34, v0
	v_mad_u64_u32 v[59:60], null, s4, v71, 0
	v_mad_u64_u32 v[57:58], null, s5, v0, v[4:5]
	;; [unrolled: 1-line block ×3, first 2 shown]
	s_delay_alu instid0(VALU_DEP_2) | instskip(NEXT) | instid1(VALU_DEP_2)
	v_dual_mov_b32 v4, v57 :: v_dual_add_nc_u32 v81, 51, v0
	v_dual_mov_b32 v57, v60 :: v_dual_mov_b32 v2, v79
	s_delay_alu instid0(VALU_DEP_2) | instskip(NEXT) | instid1(VALU_DEP_2)
	v_mad_u64_u32 v[72:73], null, s4, v81, 0
	v_mad_u64_u32 v[69:70], null, s5, v71, v[57:58]
	s_delay_alu instid0(VALU_DEP_3) | instskip(SKIP_1) | instid1(VALU_DEP_2)
	v_lshlrev_b64 v[1:2], 4, v[1:2]
	v_mad_u64_u32 v[70:71], null, s4, v74, 0
	v_add_co_u32 v57, vcc_lo, s0, v1
	s_delay_alu instid0(VALU_DEP_3) | instskip(SKIP_3) | instid1(VALU_DEP_2)
	v_add_co_ci_u32_e32 v58, vcc_lo, s1, v2, vcc_lo
	v_lshlrev_b64 v[1:2], 4, v[3:4]
	v_dual_mov_b32 v60, v69 :: v_dual_add_nc_u32 v69, 0x44, v0
	v_mov_b32_e32 v3, v71
	v_lshlrev_b64 v[59:60], 4, v[59:60]
	s_delay_alu instid0(VALU_DEP_4) | instskip(NEXT) | instid1(VALU_DEP_3)
	v_add_co_u32 v1, vcc_lo, v57, v1
	v_mad_u64_u32 v[79:80], null, s5, v74, v[3:4]
	v_mov_b32_e32 v3, v73
	v_add_co_ci_u32_e32 v2, vcc_lo, v58, v2, vcc_lo
	v_add_co_u32 v59, vcc_lo, v57, v59
	s_delay_alu instid0(VALU_DEP_3)
	v_mad_u64_u32 v[73:74], null, s5, v81, v[3:4]
	v_mad_u64_u32 v[3:4], null, s4, v69, 0
	v_add_co_ci_u32_e32 v60, vcc_lo, v58, v60, vcc_lo
	global_store_b128 v[1:2], v[65:68], off
	v_add_nc_u32_e32 v65, 0x55, v0
	v_dual_mov_b32 v71, v79 :: v_dual_add_nc_u32 v66, 0x66, v0
	global_store_b128 v[59:60], v[61:64], off
	v_lshlrev_b64 v[61:62], 4, v[72:73]
	v_mad_u64_u32 v[59:60], null, s4, v65, 0
	v_lshlrev_b64 v[1:2], 4, v[70:71]
	v_mad_u64_u32 v[63:64], null, s5, v69, v[4:5]
	s_delay_alu instid0(VALU_DEP_2) | instskip(NEXT) | instid1(VALU_DEP_3)
	v_add_co_u32 v1, vcc_lo, v57, v1
	v_add_co_ci_u32_e32 v2, vcc_lo, v58, v2, vcc_lo
	s_delay_alu instid0(VALU_DEP_3)
	v_mov_b32_e32 v4, v63
	v_add_co_u32 v61, vcc_lo, v57, v61
	v_add_co_ci_u32_e32 v62, vcc_lo, v58, v62, vcc_lo
	global_store_b128 v[1:2], v[75:78], off
	v_lshlrev_b64 v[1:2], 4, v[3:4]
	v_mad_u64_u32 v[63:64], null, s5, v65, v[60:61]
	v_mad_u64_u32 v[64:65], null, s4, v66, 0
	global_store_b128 v[61:62], v[53:56], off
	v_add_nc_u32_e32 v61, 0x77, v0
	v_add_co_u32 v1, vcc_lo, v57, v1
	v_add_co_ci_u32_e32 v2, vcc_lo, v58, v2, vcc_lo
	v_dual_mov_b32 v60, v63 :: v_dual_mov_b32 v3, v65
	global_store_b128 v[1:2], v[49:52], off
	v_add_nc_u32_e32 v49, 0x88, v0
	v_add_nc_u32_e32 v50, 0x99, v0
	;; [unrolled: 1-line block ×4, first 2 shown]
	v_lshlrev_b64 v[53:54], 4, v[59:60]
	v_mad_u64_u32 v[55:56], null, s5, v66, v[3:4]
	v_mad_u64_u32 v[3:4], null, s4, v61, 0
	s_delay_alu instid0(VALU_DEP_3) | instskip(NEXT) | instid1(VALU_DEP_4)
	v_add_co_u32 v53, vcc_lo, v57, v53
	v_add_co_ci_u32_e32 v54, vcc_lo, v58, v54, vcc_lo
	s_delay_alu instid0(VALU_DEP_4) | instskip(NEXT) | instid1(VALU_DEP_4)
	v_mov_b32_e32 v65, v55
	v_mov_b32_e32 v1, v4
	global_store_b128 v[53:54], v[45:48], off
	v_lshlrev_b64 v[45:46], 4, v[64:65]
	v_mad_u64_u32 v[47:48], null, s5, v61, v[1:2]
	v_mad_u64_u32 v[1:2], null, s4, v49, 0
	s_delay_alu instid0(VALU_DEP_3) | instskip(NEXT) | instid1(VALU_DEP_4)
	v_add_co_u32 v45, vcc_lo, v57, v45
	v_add_co_ci_u32_e32 v46, vcc_lo, v58, v46, vcc_lo
	s_delay_alu instid0(VALU_DEP_4) | instskip(SKIP_4) | instid1(VALU_DEP_1)
	v_mov_b32_e32 v4, v47
	v_mad_u64_u32 v[47:48], null, s4, v50, 0
	global_store_b128 v[45:46], v[41:44], off
	v_mad_u64_u32 v[43:44], null, s4, v51, 0
	v_lshlrev_b64 v[3:4], 4, v[3:4]
	v_mad_u64_u32 v[41:42], null, s5, v49, v[2:3]
	v_add_co_u32 v3, vcc_lo, v57, v3
	v_mov_b32_e32 v42, v48
	s_delay_alu instid0(VALU_DEP_4) | instskip(NEXT) | instid1(VALU_DEP_4)
	v_add_co_ci_u32_e32 v4, vcc_lo, v58, v4, vcc_lo
	v_mov_b32_e32 v2, v41
	s_delay_alu instid0(VALU_DEP_3)
	v_mad_u64_u32 v[45:46], null, s5, v50, v[42:43]
	v_mad_u64_u32 v[49:50], null, s4, v52, 0
	v_mov_b32_e32 v41, v44
                                        ; kill: def $vgpr42 killed $sgpr0 killed $exec
	global_store_b128 v[3:4], v[37:40], off
	v_lshlrev_b64 v[1:2], 4, v[1:2]
	v_mov_b32_e32 v48, v45
	v_mad_u64_u32 v[3:4], null, s5, v51, v[41:42]
	v_mov_b32_e32 v4, v50
	s_delay_alu instid0(VALU_DEP_4) | instskip(NEXT) | instid1(VALU_DEP_4)
	v_add_co_u32 v1, vcc_lo, v57, v1
	v_lshlrev_b64 v[37:38], 4, v[47:48]
	v_add_co_ci_u32_e32 v2, vcc_lo, v58, v2, vcc_lo
	s_delay_alu instid0(VALU_DEP_4)
	v_mad_u64_u32 v[39:40], null, s5, v52, v[4:5]
	v_mov_b32_e32 v44, v3
	v_add_nc_u32_e32 v40, 0xcc, v0
	v_add_co_u32 v3, vcc_lo, v57, v37
	global_store_b128 v[1:2], v[33:36], off
	v_lshlrev_b64 v[1:2], 4, v[43:44]
	v_mad_u64_u32 v[33:34], null, s4, v40, 0
	v_mov_b32_e32 v50, v39
	v_add_co_ci_u32_e32 v4, vcc_lo, v58, v38, vcc_lo
	s_delay_alu instid0(VALU_DEP_4) | instskip(NEXT) | instid1(VALU_DEP_3)
	v_add_co_u32 v1, vcc_lo, v57, v1
	v_lshlrev_b64 v[35:36], 4, v[49:50]
	v_add_co_ci_u32_e32 v2, vcc_lo, v58, v2, vcc_lo
	s_clause 0x1
	global_store_b128 v[3:4], v[29:32], off
	global_store_b128 v[1:2], v[25:28], off
	v_mov_b32_e32 v1, v34
	v_add_co_u32 v2, vcc_lo, v57, v35
	v_add_nc_u32_e32 v4, 0xdd, v0
	v_add_nc_u32_e32 v29, 0xee, v0
	v_add_nc_u32_e32 v30, 0xff, v0
	v_add_co_ci_u32_e32 v3, vcc_lo, v58, v36, vcc_lo
	v_mad_u64_u32 v[25:26], null, s5, v40, v[1:2]
	v_mad_u64_u32 v[26:27], null, s4, v4, 0
	global_store_b128 v[2:3], v[21:24], off
	v_mad_u64_u32 v[1:2], null, s4, v29, 0
	v_mad_u64_u32 v[21:22], null, s4, v30, 0
	v_dual_mov_b32 v34, v25 :: v_dual_add_nc_u32 v25, 0x110, v0
	v_mov_b32_e32 v3, v27
	s_delay_alu instid0(VALU_DEP_2) | instskip(NEXT) | instid1(VALU_DEP_4)
	v_lshlrev_b64 v[23:24], 4, v[33:34]
	v_mov_b32_e32 v0, v22
	s_delay_alu instid0(VALU_DEP_3) | instskip(SKIP_4) | instid1(VALU_DEP_4)
	v_mad_u64_u32 v[27:28], null, s5, v4, v[3:4]
	v_mad_u64_u32 v[3:4], null, s5, v29, v[2:3]
	v_mad_u64_u32 v[28:29], null, s4, v25, 0
	v_add_co_u32 v22, vcc_lo, v57, v23
	v_add_co_ci_u32_e32 v23, vcc_lo, v58, v24, vcc_lo
	v_mov_b32_e32 v2, v3
	v_mad_u64_u32 v[3:4], null, s5, v30, v[0:1]
	v_mov_b32_e32 v0, v29
	global_store_b128 v[22:23], v[17:20], off
	v_lshlrev_b64 v[17:18], 4, v[26:27]
	v_lshlrev_b64 v[1:2], 4, v[1:2]
	v_mov_b32_e32 v22, v3
	s_delay_alu instid0(VALU_DEP_3) | instskip(NEXT) | instid1(VALU_DEP_3)
	v_add_co_u32 v3, vcc_lo, v57, v17
	v_mad_u64_u32 v[19:20], null, s5, v25, v[0:1]
	v_add_co_ci_u32_e32 v4, vcc_lo, v58, v18, vcc_lo
	s_delay_alu instid0(VALU_DEP_4) | instskip(SKIP_3) | instid1(VALU_DEP_4)
	v_lshlrev_b64 v[17:18], 4, v[21:22]
	v_add_co_u32 v0, vcc_lo, v57, v1
	v_add_co_ci_u32_e32 v1, vcc_lo, v58, v2, vcc_lo
	v_mov_b32_e32 v29, v19
	v_add_co_u32 v17, vcc_lo, v57, v17
	v_add_co_ci_u32_e32 v18, vcc_lo, v58, v18, vcc_lo
	s_clause 0x2
	global_store_b128 v[3:4], v[13:16], off
	global_store_b128 v[0:1], v[9:12], off
	;; [unrolled: 1-line block ×3, first 2 shown]
	v_lshlrev_b64 v[19:20], 4, v[28:29]
	scratch_load_b128 v[0:3], off, off offset:4 ; 16-byte Folded Reload
	v_add_co_u32 v19, vcc_lo, v57, v19
	v_add_co_ci_u32_e32 v20, vcc_lo, v58, v20, vcc_lo
	s_waitcnt vmcnt(0)
	global_store_b128 v[19:20], v[0:3], off
.LBB0_48:
	s_endpgm
	.section	.rodata,"a",@progbits
	.p2align	6, 0x0
	.amdhsa_kernel fft_rtc_fwd_len289_factors_17_17_wgs_119_tpt_17_dp_op_CI_CI_sbcc_twdbase8_2step_dirReg_intrinsicRead
		.amdhsa_group_segment_fixed_size 0
		.amdhsa_private_segment_fixed_size 440
		.amdhsa_kernarg_size 112
		.amdhsa_user_sgpr_count 15
		.amdhsa_user_sgpr_dispatch_ptr 0
		.amdhsa_user_sgpr_queue_ptr 0
		.amdhsa_user_sgpr_kernarg_segment_ptr 1
		.amdhsa_user_sgpr_dispatch_id 0
		.amdhsa_user_sgpr_private_segment_size 0
		.amdhsa_wavefront_size32 1
		.amdhsa_uses_dynamic_stack 0
		.amdhsa_enable_private_segment 1
		.amdhsa_system_sgpr_workgroup_id_x 1
		.amdhsa_system_sgpr_workgroup_id_y 0
		.amdhsa_system_sgpr_workgroup_id_z 0
		.amdhsa_system_sgpr_workgroup_info 0
		.amdhsa_system_vgpr_workitem_id 0
		.amdhsa_next_free_vgpr 256
		.amdhsa_next_free_sgpr 66
		.amdhsa_reserve_vcc 1
		.amdhsa_float_round_mode_32 0
		.amdhsa_float_round_mode_16_64 0
		.amdhsa_float_denorm_mode_32 3
		.amdhsa_float_denorm_mode_16_64 3
		.amdhsa_dx10_clamp 1
		.amdhsa_ieee_mode 1
		.amdhsa_fp16_overflow 0
		.amdhsa_workgroup_processor_mode 1
		.amdhsa_memory_ordered 1
		.amdhsa_forward_progress 0
		.amdhsa_shared_vgpr_count 0
		.amdhsa_exception_fp_ieee_invalid_op 0
		.amdhsa_exception_fp_denorm_src 0
		.amdhsa_exception_fp_ieee_div_zero 0
		.amdhsa_exception_fp_ieee_overflow 0
		.amdhsa_exception_fp_ieee_underflow 0
		.amdhsa_exception_fp_ieee_inexact 0
		.amdhsa_exception_int_div_zero 0
	.end_amdhsa_kernel
	.text
.Lfunc_end0:
	.size	fft_rtc_fwd_len289_factors_17_17_wgs_119_tpt_17_dp_op_CI_CI_sbcc_twdbase8_2step_dirReg_intrinsicRead, .Lfunc_end0-fft_rtc_fwd_len289_factors_17_17_wgs_119_tpt_17_dp_op_CI_CI_sbcc_twdbase8_2step_dirReg_intrinsicRead
                                        ; -- End function
	.section	.AMDGPU.csdata,"",@progbits
; Kernel info:
; codeLenInByte = 21968
; NumSgprs: 68
; NumVgprs: 256
; ScratchSize: 440
; MemoryBound: 0
; FloatMode: 240
; IeeeMode: 1
; LDSByteSize: 0 bytes/workgroup (compile time only)
; SGPRBlocks: 8
; VGPRBlocks: 31
; NumSGPRsForWavesPerEU: 68
; NumVGPRsForWavesPerEU: 256
; Occupancy: 5
; WaveLimiterHint : 1
; COMPUTE_PGM_RSRC2:SCRATCH_EN: 1
; COMPUTE_PGM_RSRC2:USER_SGPR: 15
; COMPUTE_PGM_RSRC2:TRAP_HANDLER: 0
; COMPUTE_PGM_RSRC2:TGID_X_EN: 1
; COMPUTE_PGM_RSRC2:TGID_Y_EN: 0
; COMPUTE_PGM_RSRC2:TGID_Z_EN: 0
; COMPUTE_PGM_RSRC2:TIDIG_COMP_CNT: 0
	.text
	.p2alignl 7, 3214868480
	.fill 96, 4, 3214868480
	.type	__hip_cuid_e7e8e071914dd36e,@object ; @__hip_cuid_e7e8e071914dd36e
	.section	.bss,"aw",@nobits
	.globl	__hip_cuid_e7e8e071914dd36e
__hip_cuid_e7e8e071914dd36e:
	.byte	0                               ; 0x0
	.size	__hip_cuid_e7e8e071914dd36e, 1

	.ident	"AMD clang version 19.0.0git (https://github.com/RadeonOpenCompute/llvm-project roc-6.4.0 25133 c7fe45cf4b819c5991fe208aaa96edf142730f1d)"
	.section	".note.GNU-stack","",@progbits
	.addrsig
	.addrsig_sym __hip_cuid_e7e8e071914dd36e
	.amdgpu_metadata
---
amdhsa.kernels:
  - .args:
      - .actual_access:  read_only
        .address_space:  global
        .offset:         0
        .size:           8
        .value_kind:     global_buffer
      - .address_space:  global
        .offset:         8
        .size:           8
        .value_kind:     global_buffer
      - .offset:         16
        .size:           8
        .value_kind:     by_value
      - .actual_access:  read_only
        .address_space:  global
        .offset:         24
        .size:           8
        .value_kind:     global_buffer
      - .actual_access:  read_only
        .address_space:  global
        .offset:         32
        .size:           8
        .value_kind:     global_buffer
      - .actual_access:  read_only
        .address_space:  global
        .offset:         40
        .size:           8
        .value_kind:     global_buffer
      - .offset:         48
        .size:           8
        .value_kind:     by_value
      - .actual_access:  read_only
        .address_space:  global
        .offset:         56
        .size:           8
        .value_kind:     global_buffer
      - .actual_access:  read_only
        .address_space:  global
        .offset:         64
        .size:           8
        .value_kind:     global_buffer
      - .offset:         72
        .size:           4
        .value_kind:     by_value
      - .actual_access:  read_only
        .address_space:  global
        .offset:         80
        .size:           8
        .value_kind:     global_buffer
      - .actual_access:  read_only
        .address_space:  global
        .offset:         88
        .size:           8
        .value_kind:     global_buffer
      - .actual_access:  read_only
        .address_space:  global
        .offset:         96
        .size:           8
        .value_kind:     global_buffer
      - .actual_access:  write_only
        .address_space:  global
        .offset:         104
        .size:           8
        .value_kind:     global_buffer
    .group_segment_fixed_size: 0
    .kernarg_segment_align: 8
    .kernarg_segment_size: 112
    .language:       OpenCL C
    .language_version:
      - 2
      - 0
    .max_flat_workgroup_size: 119
    .name:           fft_rtc_fwd_len289_factors_17_17_wgs_119_tpt_17_dp_op_CI_CI_sbcc_twdbase8_2step_dirReg_intrinsicRead
    .private_segment_fixed_size: 440
    .sgpr_count:     68
    .sgpr_spill_count: 0
    .symbol:         fft_rtc_fwd_len289_factors_17_17_wgs_119_tpt_17_dp_op_CI_CI_sbcc_twdbase8_2step_dirReg_intrinsicRead.kd
    .uniform_work_group_size: 1
    .uses_dynamic_stack: false
    .vgpr_count:     256
    .vgpr_spill_count: 155
    .wavefront_size: 32
    .workgroup_processor_mode: 1
amdhsa.target:   amdgcn-amd-amdhsa--gfx1100
amdhsa.version:
  - 1
  - 2
...

	.end_amdgpu_metadata
